;; amdgpu-corpus repo=ROCm/rocBLAS kind=compiled arch=gfx1201 opt=O3
	.amdgcn_target "amdgcn-amd-amdhsa--gfx1201"
	.amdhsa_code_object_version 6
	.section	.text._ZL18rocblas_her_kernelILi1024EPKfPK19rocblas_complex_numIfEPS3_EvbiT0_T1_lllT2_llli,"axG",@progbits,_ZL18rocblas_her_kernelILi1024EPKfPK19rocblas_complex_numIfEPS3_EvbiT0_T1_lllT2_llli,comdat
	.globl	_ZL18rocblas_her_kernelILi1024EPKfPK19rocblas_complex_numIfEPS3_EvbiT0_T1_lllT2_llli ; -- Begin function _ZL18rocblas_her_kernelILi1024EPKfPK19rocblas_complex_numIfEPS3_EvbiT0_T1_lllT2_llli
	.p2align	8
	.type	_ZL18rocblas_her_kernelILi1024EPKfPK19rocblas_complex_numIfEPS3_EvbiT0_T1_lllT2_llli,@function
_ZL18rocblas_her_kernelILi1024EPKfPK19rocblas_complex_numIfEPS3_EvbiT0_T1_lllT2_llli: ; @_ZL18rocblas_her_kernelILi1024EPKfPK19rocblas_complex_numIfEPS3_EvbiT0_T1_lllT2_llli
; %bb.0:
	s_load_b32 s33, s[0:1], 0x50
	s_lshr_b32 s20, ttmp7, 16
	s_wait_kmcnt 0x0
	s_cmp_ge_u32 s20, s33
	s_cbranch_scc1 .LBB0_19
; %bb.1:
	s_clause 0x2
	s_load_b64 s[24:25], s[0:1], 0x0
	s_load_b512 s[4:19], s[0:1], 0x8
	s_load_b64 s[26:27], s[0:1], 0x48
	s_mov_b32 s22, ttmp9
	v_cmp_eq_u32_e64 s0, 0, v0
	s_mov_b32 s21, 0
	s_wait_kmcnt 0x0
	v_cmp_gt_i32_e32 vcc_lo, s25, v0
	v_mov_b32_e32 v2, 0
	v_mad_co_u64_u32 v[3:4], null, s10, v0, 0
	s_bitcmp1_b32 s24, 0
	v_cndmask_b32_e32 v1, 0, v0, vcc_lo
	s_cselect_b32 s1, -1, 0
	s_lshl_b64 s[2:3], s[8:9], 3
	s_lshl_b64 s[8:9], s[18:19], 3
	s_add_nc_u64 s[6:7], s[6:7], s[2:3]
	v_dual_mov_b32 v1, v4 :: v_dual_lshlrev_b32 v6, 3, v1
	s_add_nc_u64 s[2:3], s[14:15], s[8:9]
	s_ashr_i32 s23, ttmp9, 31
	s_xor_b32 s24, s1, -1
	s_delay_alu instid0(VALU_DEP_1)
	v_add_co_u32 v7, s1, s2, v6
	s_mul_u64 s[16:17], s[16:17], s[22:23]
	v_add_co_ci_u32_e64 v8, null, s3, 0, s1
	s_add_co_i32 s18, ttmp9, 1
	s_lshl_b64 s[16:17], s[16:17], 3
	s_ashr_i32 s19, s18, 31
	v_add_co_u32 v10, vcc_lo, v7, s16
	v_mad_co_u64_u32 v[4:5], null, s11, v0, v[1:2]
	s_wait_alu 0xfffd
	v_add_co_ci_u32_e64 v11, null, s17, v8, vcc_lo
	s_add_nc_u64 s[16:17], s[16:17], s[8:9]
	s_lshl_b64 s[2:3], s[18:19], 3
	v_add_nc_u32_e32 v9, s18, v0
	s_wait_alu 0xfffe
	s_add_nc_u64 s[8:9], s[16:17], s[2:3]
	v_lshlrev_b64_e32 v[3:4], 3, v[3:4]
	s_add_nc_u64 s[8:9], s[14:15], s[8:9]
	s_add_nc_u64 s[14:15], s[14:15], s[16:17]
	v_add_co_u32 v1, s3, s8, v6
	s_wait_alu 0xf1ff
	v_add_co_ci_u32_e64 v5, null, s9, 0, s3
	v_cmp_gt_i32_e64 s1, s25, v9
	s_delay_alu instid0(VALU_DEP_3) | instskip(SKIP_1) | instid1(VALU_DEP_3)
	v_add_co_u32 v12, vcc_lo, v1, 4
	s_wait_alu 0xfffd
	v_add_co_ci_u32_e64 v13, null, 0, v5, vcc_lo
	v_add_co_u32 v1, vcc_lo, s6, v3
	s_wait_alu 0xfffd
	v_add_co_ci_u32_e64 v4, null, s7, v4, vcc_lo
	v_cmp_gt_i32_e64 s2, ttmp9, v0
	s_delay_alu instid0(VALU_DEP_3)
	v_add_co_u32 v3, vcc_lo, v1, 4
	v_add_co_u32 v1, s3, s14, v6
	s_wait_alu 0xf1ff
	v_add_co_ci_u32_e64 v5, null, s15, 0, s3
	s_wait_alu 0xfffd
	v_add_co_ci_u32_e64 v4, null, 0, v4, vcc_lo
	v_add_co_u32 v14, vcc_lo, v1, 4
	s_wait_alu 0xfffd
	v_add_co_ci_u32_e64 v15, null, 0, v5, vcc_lo
	s_mul_u64 s[28:29], s[10:11], s[22:23]
	s_lshl_b64 s[8:9], s[26:27], 3
	s_lshl_b64 s[14:15], s[12:13], 3
	s_lshl_b64 s[16:17], s[10:11], 13
	s_lshl_b64 s[18:19], s[28:29], 3
	s_lshl_b64 s[28:29], s[22:23], 3
	s_branch .LBB0_4
.LBB0_2:                                ;   in Loop: Header=BB0_4 Depth=1
	s_wait_alu 0xfffe
	s_or_b32 exec_lo, exec_lo, s3
.LBB0_3:                                ;   in Loop: Header=BB0_4 Depth=1
	s_add_co_i32 s20, s20, 0x10000
	s_wait_alu 0xfffe
	s_cmp_lt_u32 s20, s33
	s_cbranch_scc0 .LBB0_19
.LBB0_4:                                ; =>This Loop Header: Depth=1
                                        ;     Child Loop BB0_10 Depth 2
                                        ;     Child Loop BB0_15 Depth 2
	global_load_b32 v1, v2, s[4:5]
	s_wait_loadcnt 0x0
	v_cmp_eq_f32_e32 vcc_lo, 0, v1
	v_readfirstlane_b32 s38, v1
	s_cbranch_vccnz .LBB0_3
; %bb.5:                                ;   in Loop: Header=BB0_4 Depth=1
	s_mul_u64 s[30:31], s[12:13], s[20:21]
	s_mul_u64 s[42:43], s[26:27], s[20:21]
	s_wait_alu 0xfffe
	s_lshl_b64 s[30:31], s[30:31], 3
	s_lshl_b64 s[42:43], s[42:43], 3
	s_wait_alu 0xfffe
	s_add_nc_u64 s[36:37], s[6:7], s[30:31]
	v_add_co_u32 v16, s3, v10, s42
	s_wait_alu 0xfffe
	s_add_nc_u64 s[30:31], s[36:37], s[18:19]
	v_add_co_ci_u32_e64 v17, null, s43, v11, s3
	s_load_b64 s[40:41], s[30:31], 0x0
	s_mul_u64 s[34:35], s[8:9], s[20:21]
	s_and_b32 vcc_lo, exec_lo, s24
	s_wait_kmcnt 0x0
	s_mul_f32 s39, s38, s41
	s_mul_f32 s23, s41, 0
	s_wait_alu 0xfffe
	s_delay_alu instid0(SALU_CYCLE_1) | instskip(NEXT) | instid1(SALU_CYCLE_1)
	s_xor_b32 s3, s39, 0x80000000
	s_fmac_f32 s23, s38, s40
	s_wait_alu 0xfffe
	s_fmamk_f32 s38, s40, 0x0, s3
	s_mov_b32 s3, -1
	s_cbranch_vccz .LBB0_12
; %bb.6:                                ;   in Loop: Header=BB0_4 Depth=1
	s_and_saveexec_b32 s3, s0
	s_cbranch_execz .LBB0_8
; %bb.7:                                ;   in Loop: Header=BB0_4 Depth=1
	v_add_co_u32 v5, vcc_lo, v16, s28
	s_wait_alu 0xfffd
	v_add_co_ci_u32_e64 v6, null, s29, v17, vcc_lo
	s_load_b64 s[40:41], s[30:31], 0x0
	global_load_b32 v1, v[5:6], off
	s_wait_kmcnt 0x0
	s_mul_f32 s39, s38, s41
	s_wait_alu 0xfffe
	s_delay_alu instid0(SALU_CYCLE_2) | instskip(SKIP_4) | instid1(SALU_CYCLE_1)
	s_xor_b32 s39, s39, 0x80000000
	s_wait_alu 0xfffe
	s_fmac_f32 s39, s23, s40
	s_wait_loadcnt 0x0
	s_wait_alu 0xfffe
	v_add_f32_e32 v1, s39, v1
	global_store_b64 v[5:6], v[1:2], off
.LBB0_8:                                ;   in Loop: Header=BB0_4 Depth=1
	s_wait_alu 0xfffe
	s_or_b32 exec_lo, exec_lo, s3
	s_and_saveexec_b32 s39, s1
	s_cbranch_execz .LBB0_11
; %bb.9:                                ;   in Loop: Header=BB0_4 Depth=1
	v_add_co_u32 v5, vcc_lo, v12, s34
	s_wait_alu 0xfffd
	v_add_co_ci_u32_e64 v6, null, s35, v13, vcc_lo
	v_mov_b32_e32 v1, v9
	s_mov_b32 s40, 0
.LBB0_10:                               ;   Parent Loop BB0_4 Depth=1
                                        ; =>  This Inner Loop Header: Depth=2
	s_delay_alu instid0(VALU_DEP_1) | instskip(SKIP_2) | instid1(VALU_DEP_3)
	v_ashrrev_i32_e32 v18, 31, v1
	v_mul_lo_u32 v19, s11, v1
	v_mad_co_u64_u32 v[7:8], null, s10, v1, 0
	v_mul_lo_u32 v18, s10, v18
	s_delay_alu instid0(VALU_DEP_1) | instskip(NEXT) | instid1(VALU_DEP_1)
	v_add3_u32 v8, v8, v18, v19
	v_lshlrev_b64_e32 v[7:8], 3, v[7:8]
	s_delay_alu instid0(VALU_DEP_1) | instskip(SKIP_1) | instid1(VALU_DEP_2)
	v_add_co_u32 v7, vcc_lo, s36, v7
	s_wait_alu 0xfffd
	v_add_co_ci_u32_e64 v8, null, s37, v8, vcc_lo
	global_load_b64 v[7:8], v[7:8], off
	global_load_b64 v[18:19], v[5:6], off offset:-4
	s_wait_loadcnt 0x1
	v_dual_mul_f32 v20, s38, v8 :: v_dual_add_nc_u32 v1, 0x400, v1
	v_mul_f32_e32 v8, s23, v8
	s_delay_alu instid0(VALU_DEP_2) | instskip(NEXT) | instid1(VALU_DEP_3)
	v_cmp_le_i32_e32 vcc_lo, s25, v1
	v_fma_f32 v20, s23, v7, -v20
	s_delay_alu instid0(VALU_DEP_3) | instskip(SKIP_2) | instid1(VALU_DEP_1)
	v_fmac_f32_e32 v8, s38, v7
	s_or_b32 s40, vcc_lo, s40
	s_wait_loadcnt 0x0
	v_dual_add_f32 v7, v18, v20 :: v_dual_add_f32 v8, v8, v19
	global_store_b64 v[5:6], v[7:8], off offset:-4
	v_add_co_u32 v5, s3, 0x2000, v5
	s_wait_alu 0xf1ff
	v_add_co_ci_u32_e64 v6, null, 0, v6, s3
	s_and_not1_b32 exec_lo, exec_lo, s40
	s_cbranch_execnz .LBB0_10
.LBB0_11:                               ;   in Loop: Header=BB0_4 Depth=1
	s_wait_alu 0xfffe
	s_or_b32 exec_lo, exec_lo, s39
	s_mov_b32 s3, 0
.LBB0_12:                               ;   in Loop: Header=BB0_4 Depth=1
	s_wait_alu 0xfffe
	s_and_b32 vcc_lo, exec_lo, s3
	s_wait_alu 0xfffe
	s_cbranch_vccz .LBB0_3
; %bb.13:                               ;   in Loop: Header=BB0_4 Depth=1
	v_dual_mov_b32 v5, 0 :: v_dual_mov_b32 v18, v0
	v_mov_b32_e32 v6, 0
	s_and_saveexec_b32 s36, s2
	s_cbranch_execz .LBB0_17
; %bb.14:                               ;   in Loop: Header=BB0_4 Depth=1
	v_mad_co_u64_u32 v[5:6], null, s14, s20, v[3:4]
	s_delay_alu instid0(VALU_DEP_1) | instskip(NEXT) | instid1(VALU_DEP_1)
	v_mov_b32_e32 v1, v6
	v_mad_co_u64_u32 v[6:7], null, s15, s20, v[1:2]
	v_add_co_u32 v7, vcc_lo, v14, s34
	s_wait_alu 0xfffd
	v_add_co_ci_u32_e64 v8, null, s35, v15, vcc_lo
	s_mov_b32 s34, 0
	s_mov_b32 s35, 0
.LBB0_15:                               ;   Parent Loop BB0_4 Depth=1
                                        ; =>  This Inner Loop Header: Depth=2
	global_load_b64 v[19:20], v[5:6], off offset:-4
	global_load_b64 v[21:22], v[7:8], off offset:-4
	s_wait_alu 0xfffe
	s_addk_co_i32 s35, 0x400
	v_add_co_u32 v5, vcc_lo, v5, s16
	s_wait_alu 0xfffe
	v_dual_mov_b32 v1, s35 :: v_dual_add_nc_u32 v18, s35, v0
	s_wait_alu 0xfffd
	v_add_co_ci_u32_e64 v6, null, s17, v6, vcc_lo
	s_delay_alu instid0(VALU_DEP_2) | instskip(SKIP_4) | instid1(VALU_DEP_1)
	v_cmp_le_i32_e32 vcc_lo, s22, v18
	s_or_b32 s34, vcc_lo, s34
	s_wait_loadcnt 0x1
	v_mul_f32_e32 v23, s38, v20
	v_mul_f32_e32 v20, s23, v20
	v_fmac_f32_e32 v20, s38, v19
	s_delay_alu instid0(VALU_DEP_3) | instskip(SKIP_1) | instid1(VALU_DEP_1)
	v_fma_f32 v23, s23, v19, -v23
	s_wait_loadcnt 0x0
	v_dual_add_f32 v20, v20, v22 :: v_dual_add_f32 v19, v21, v23
	global_store_b64 v[7:8], v[19:20], off offset:-4
	v_add_co_u32 v7, s3, 0x2000, v7
	s_wait_alu 0xf1ff
	v_add_co_ci_u32_e64 v8, null, 0, v8, s3
	s_wait_alu 0xfffe
	s_and_not1_b32 exec_lo, exec_lo, s34
	s_cbranch_execnz .LBB0_15
; %bb.16:                               ;   in Loop: Header=BB0_4 Depth=1
	s_or_b32 exec_lo, exec_lo, s34
	v_dual_mov_b32 v6, v2 :: v_dual_mov_b32 v5, v1
.LBB0_17:                               ;   in Loop: Header=BB0_4 Depth=1
	s_wait_alu 0xfffe
	s_or_b32 exec_lo, exec_lo, s36
	s_delay_alu instid0(SALU_CYCLE_1)
	s_mov_b32 s3, exec_lo
	v_cmpx_eq_u32_e64 s22, v18
	s_cbranch_execz .LBB0_2
; %bb.18:                               ;   in Loop: Header=BB0_4 Depth=1
	v_lshlrev_b64_e32 v[5:6], 3, v[5:6]
	s_load_b64 s[30:31], s[30:31], 0x0
	s_delay_alu instid0(VALU_DEP_1) | instskip(SKIP_1) | instid1(VALU_DEP_2)
	v_add_co_u32 v5, vcc_lo, v16, v5
	s_wait_alu 0xfffd
	v_add_co_ci_u32_e64 v6, null, v17, v6, vcc_lo
	global_load_b32 v1, v[5:6], off
	s_wait_kmcnt 0x0
	s_mul_f32 s31, s38, s31
	s_wait_alu 0xfffe
	s_delay_alu instid0(SALU_CYCLE_2) | instskip(SKIP_4) | instid1(SALU_CYCLE_1)
	s_xor_b32 s31, s31, 0x80000000
	s_wait_alu 0xfffe
	s_fmac_f32 s31, s23, s30
	s_wait_loadcnt 0x0
	s_wait_alu 0xfffe
	v_add_f32_e32 v1, s31, v1
	global_store_b64 v[5:6], v[1:2], off
	s_branch .LBB0_2
.LBB0_19:
	s_endpgm
	.section	.rodata,"a",@progbits
	.p2align	6, 0x0
	.amdhsa_kernel _ZL18rocblas_her_kernelILi1024EPKfPK19rocblas_complex_numIfEPS3_EvbiT0_T1_lllT2_llli
		.amdhsa_group_segment_fixed_size 0
		.amdhsa_private_segment_fixed_size 0
		.amdhsa_kernarg_size 84
		.amdhsa_user_sgpr_count 2
		.amdhsa_user_sgpr_dispatch_ptr 0
		.amdhsa_user_sgpr_queue_ptr 0
		.amdhsa_user_sgpr_kernarg_segment_ptr 1
		.amdhsa_user_sgpr_dispatch_id 0
		.amdhsa_user_sgpr_private_segment_size 0
		.amdhsa_wavefront_size32 1
		.amdhsa_uses_dynamic_stack 0
		.amdhsa_enable_private_segment 0
		.amdhsa_system_sgpr_workgroup_id_x 1
		.amdhsa_system_sgpr_workgroup_id_y 0
		.amdhsa_system_sgpr_workgroup_id_z 1
		.amdhsa_system_sgpr_workgroup_info 0
		.amdhsa_system_vgpr_workitem_id 0
		.amdhsa_next_free_vgpr 24
		.amdhsa_next_free_sgpr 44
		.amdhsa_reserve_vcc 1
		.amdhsa_float_round_mode_32 0
		.amdhsa_float_round_mode_16_64 0
		.amdhsa_float_denorm_mode_32 3
		.amdhsa_float_denorm_mode_16_64 3
		.amdhsa_fp16_overflow 0
		.amdhsa_workgroup_processor_mode 1
		.amdhsa_memory_ordered 1
		.amdhsa_forward_progress 1
		.amdhsa_inst_pref_size 11
		.amdhsa_round_robin_scheduling 0
		.amdhsa_exception_fp_ieee_invalid_op 0
		.amdhsa_exception_fp_denorm_src 0
		.amdhsa_exception_fp_ieee_div_zero 0
		.amdhsa_exception_fp_ieee_overflow 0
		.amdhsa_exception_fp_ieee_underflow 0
		.amdhsa_exception_fp_ieee_inexact 0
		.amdhsa_exception_int_div_zero 0
	.end_amdhsa_kernel
	.section	.text._ZL18rocblas_her_kernelILi1024EPKfPK19rocblas_complex_numIfEPS3_EvbiT0_T1_lllT2_llli,"axG",@progbits,_ZL18rocblas_her_kernelILi1024EPKfPK19rocblas_complex_numIfEPS3_EvbiT0_T1_lllT2_llli,comdat
.Lfunc_end0:
	.size	_ZL18rocblas_her_kernelILi1024EPKfPK19rocblas_complex_numIfEPS3_EvbiT0_T1_lllT2_llli, .Lfunc_end0-_ZL18rocblas_her_kernelILi1024EPKfPK19rocblas_complex_numIfEPS3_EvbiT0_T1_lllT2_llli
                                        ; -- End function
	.set _ZL18rocblas_her_kernelILi1024EPKfPK19rocblas_complex_numIfEPS3_EvbiT0_T1_lllT2_llli.num_vgpr, 24
	.set _ZL18rocblas_her_kernelILi1024EPKfPK19rocblas_complex_numIfEPS3_EvbiT0_T1_lllT2_llli.num_agpr, 0
	.set _ZL18rocblas_her_kernelILi1024EPKfPK19rocblas_complex_numIfEPS3_EvbiT0_T1_lllT2_llli.numbered_sgpr, 44
	.set _ZL18rocblas_her_kernelILi1024EPKfPK19rocblas_complex_numIfEPS3_EvbiT0_T1_lllT2_llli.num_named_barrier, 0
	.set _ZL18rocblas_her_kernelILi1024EPKfPK19rocblas_complex_numIfEPS3_EvbiT0_T1_lllT2_llli.private_seg_size, 0
	.set _ZL18rocblas_her_kernelILi1024EPKfPK19rocblas_complex_numIfEPS3_EvbiT0_T1_lllT2_llli.uses_vcc, 1
	.set _ZL18rocblas_her_kernelILi1024EPKfPK19rocblas_complex_numIfEPS3_EvbiT0_T1_lllT2_llli.uses_flat_scratch, 0
	.set _ZL18rocblas_her_kernelILi1024EPKfPK19rocblas_complex_numIfEPS3_EvbiT0_T1_lllT2_llli.has_dyn_sized_stack, 0
	.set _ZL18rocblas_her_kernelILi1024EPKfPK19rocblas_complex_numIfEPS3_EvbiT0_T1_lllT2_llli.has_recursion, 0
	.set _ZL18rocblas_her_kernelILi1024EPKfPK19rocblas_complex_numIfEPS3_EvbiT0_T1_lllT2_llli.has_indirect_call, 0
	.section	.AMDGPU.csdata,"",@progbits
; Kernel info:
; codeLenInByte = 1340
; TotalNumSgprs: 46
; NumVgprs: 24
; ScratchSize: 0
; MemoryBound: 0
; FloatMode: 240
; IeeeMode: 1
; LDSByteSize: 0 bytes/workgroup (compile time only)
; SGPRBlocks: 0
; VGPRBlocks: 2
; NumSGPRsForWavesPerEU: 46
; NumVGPRsForWavesPerEU: 24
; Occupancy: 16
; WaveLimiterHint : 0
; COMPUTE_PGM_RSRC2:SCRATCH_EN: 0
; COMPUTE_PGM_RSRC2:USER_SGPR: 2
; COMPUTE_PGM_RSRC2:TRAP_HANDLER: 0
; COMPUTE_PGM_RSRC2:TGID_X_EN: 1
; COMPUTE_PGM_RSRC2:TGID_Y_EN: 0
; COMPUTE_PGM_RSRC2:TGID_Z_EN: 1
; COMPUTE_PGM_RSRC2:TIDIG_COMP_CNT: 0
	.section	.text._ZL18rocblas_her_kernelILi1024EfPK19rocblas_complex_numIfEPS1_EvbiT0_T1_lllT2_llli,"axG",@progbits,_ZL18rocblas_her_kernelILi1024EfPK19rocblas_complex_numIfEPS1_EvbiT0_T1_lllT2_llli,comdat
	.globl	_ZL18rocblas_her_kernelILi1024EfPK19rocblas_complex_numIfEPS1_EvbiT0_T1_lllT2_llli ; -- Begin function _ZL18rocblas_her_kernelILi1024EfPK19rocblas_complex_numIfEPS1_EvbiT0_T1_lllT2_llli
	.p2align	8
	.type	_ZL18rocblas_her_kernelILi1024EfPK19rocblas_complex_numIfEPS1_EvbiT0_T1_lllT2_llli,@function
_ZL18rocblas_her_kernelILi1024EfPK19rocblas_complex_numIfEPS1_EvbiT0_T1_lllT2_llli: ; @_ZL18rocblas_her_kernelILi1024EfPK19rocblas_complex_numIfEPS1_EvbiT0_T1_lllT2_llli
; %bb.0:
	s_load_b32 s23, s[0:1], 0x50
	s_lshr_b32 s24, ttmp7, 16
	s_wait_kmcnt 0x0
	s_cmp_ge_u32 s24, s23
	s_cbranch_scc1 .LBB1_19
; %bb.1:
	s_clause 0x1
	s_load_b96 s[20:22], s[0:1], 0x0
	s_load_b512 s[4:19], s[0:1], 0x10
	s_mov_b32 s26, ttmp9
	v_cmp_eq_u32_e64 s0, 0, v0
	s_mov_b32 s25, 0
	s_wait_kmcnt 0x0
	v_cmp_gt_i32_e32 vcc_lo, s21, v0
	v_mov_b32_e32 v2, 0
	s_bitcmp1_b32 s20, 0
	v_mad_co_u64_u32 v[3:4], null, s8, v0, 0
	v_cndmask_b32_e32 v1, 0, v0, vcc_lo
	s_cselect_b32 s1, -1, 0
	s_lshl_b64 s[2:3], s[6:7], 3
	s_lshl_b64 s[6:7], s[16:17], 3
	s_xor_b32 s20, s1, -1
	s_delay_alu instid0(VALU_DEP_2)
	v_dual_mov_b32 v1, v4 :: v_dual_lshlrev_b32 v6, 3, v1
	s_cmp_neq_f32 s22, 0
	s_add_nc_u64 s[4:5], s[4:5], s[2:3]
	s_add_nc_u64 s[2:3], s[12:13], s[6:7]
	s_cselect_b32 s33, -1, 0
	s_ashr_i32 s27, ttmp9, 31
	v_add_co_u32 v4, s1, s2, v6
	s_delay_alu instid0(VALU_DEP_1)
	v_add_co_ci_u32_e64 v5, null, s3, 0, s1
	s_mul_u64 s[2:3], s[14:15], s[26:27]
	s_add_co_i32 s16, ttmp9, 1
	s_wait_alu 0xfffe
	s_lshl_b64 s[2:3], s[2:3], 3
	s_ashr_i32 s17, s16, 31
	s_wait_alu 0xfffe
	v_add_co_u32 v10, vcc_lo, v4, s2
	s_wait_alu 0xfffd
	v_add_co_ci_u32_e64 v11, null, s3, v5, vcc_lo
	v_mad_co_u64_u32 v[4:5], null, s9, v0, v[1:2]
	s_add_nc_u64 s[14:15], s[2:3], s[6:7]
	s_lshl_b64 s[2:3], s[16:17], 3
	v_add_nc_u32_e32 v9, s16, v0
	s_wait_alu 0xfffe
	s_add_nc_u64 s[6:7], s[14:15], s[2:3]
	v_cmp_gt_i32_e64 s2, ttmp9, v0
	s_add_nc_u64 s[6:7], s[12:13], s[6:7]
	v_lshlrev_b64_e32 v[3:4], 3, v[3:4]
	v_add_co_u32 v1, s3, s6, v6
	s_wait_alu 0xf1ff
	v_add_co_ci_u32_e64 v5, null, s7, 0, s3
	s_add_nc_u64 s[12:13], s[12:13], s[14:15]
	v_add_co_u32 v12, vcc_lo, v1, 4
	s_wait_alu 0xfffd
	v_add_co_ci_u32_e64 v13, null, 0, v5, vcc_lo
	v_add_co_u32 v1, vcc_lo, s4, v3
	s_wait_alu 0xfffd
	v_add_co_ci_u32_e64 v4, null, s5, v4, vcc_lo
	v_cmp_gt_i32_e64 s1, s21, v9
	s_delay_alu instid0(VALU_DEP_3)
	v_add_co_u32 v3, vcc_lo, v1, 4
	v_add_co_u32 v1, s3, s12, v6
	s_wait_alu 0xf1ff
	v_add_co_ci_u32_e64 v5, null, s13, 0, s3
	s_wait_alu 0xfffd
	v_add_co_ci_u32_e64 v4, null, 0, v4, vcc_lo
	v_add_co_u32 v14, vcc_lo, v1, 4
	s_wait_alu 0xfffd
	v_add_co_ci_u32_e64 v15, null, 0, v5, vcc_lo
	s_mul_u64 s[28:29], s[8:9], s[26:27]
	s_lshl_b64 s[6:7], s[18:19], 3
	s_lshl_b64 s[12:13], s[10:11], 3
	;; [unrolled: 1-line block ×5, first 2 shown]
	s_branch .LBB1_4
.LBB1_2:                                ;   in Loop: Header=BB1_4 Depth=1
	s_wait_alu 0xfffe
	s_or_b32 exec_lo, exec_lo, s3
.LBB1_3:                                ;   in Loop: Header=BB1_4 Depth=1
	s_add_co_i32 s24, s24, 0x10000
	s_wait_alu 0xfffe
	s_cmp_lt_u32 s24, s23
	s_cbranch_scc0 .LBB1_19
.LBB1_4:                                ; =>This Loop Header: Depth=1
                                        ;     Child Loop BB1_10 Depth 2
                                        ;     Child Loop BB1_15 Depth 2
	s_and_not1_b32 vcc_lo, exec_lo, s33
	s_wait_alu 0xfffe
	s_cbranch_vccnz .LBB1_3
; %bb.5:                                ;   in Loop: Header=BB1_4 Depth=1
	s_mul_u64 s[30:31], s[10:11], s[24:25]
	s_mul_u64 s[40:41], s[18:19], s[24:25]
	s_wait_alu 0xfffe
	s_lshl_b64 s[30:31], s[30:31], 3
	s_lshl_b64 s[40:41], s[40:41], 3
	s_wait_alu 0xfffe
	s_add_nc_u64 s[36:37], s[4:5], s[30:31]
	v_add_co_u32 v16, s3, v10, s40
	s_wait_alu 0xfffe
	s_add_nc_u64 s[30:31], s[36:37], s[16:17]
	v_add_co_ci_u32_e64 v17, null, s41, v11, s3
	s_load_b64 s[38:39], s[30:31], 0x0
	s_mul_u64 s[34:35], s[6:7], s[24:25]
	s_and_b32 vcc_lo, exec_lo, s20
	s_wait_kmcnt 0x0
	s_mul_f32 s27, s39, 0
	s_mul_f32 s39, s22, s39
	s_wait_alu 0xfffe
	s_delay_alu instid0(SALU_CYCLE_1) | instskip(NEXT) | instid1(SALU_CYCLE_1)
	s_fmac_f32 s27, s22, s38
	s_xor_b32 s3, s39, 0x80000000
	s_wait_alu 0xfffe
	s_fmamk_f32 s38, s38, 0x0, s3
	s_mov_b32 s3, -1
	s_cbranch_vccz .LBB1_12
; %bb.6:                                ;   in Loop: Header=BB1_4 Depth=1
	s_and_saveexec_b32 s3, s0
	s_cbranch_execz .LBB1_8
; %bb.7:                                ;   in Loop: Header=BB1_4 Depth=1
	v_add_co_u32 v5, vcc_lo, v16, s28
	s_wait_alu 0xfffd
	v_add_co_ci_u32_e64 v6, null, s29, v17, vcc_lo
	s_load_b64 s[40:41], s[30:31], 0x0
	global_load_b32 v1, v[5:6], off
	s_wait_kmcnt 0x0
	s_mul_f32 s39, s38, s41
	s_wait_alu 0xfffe
	s_delay_alu instid0(SALU_CYCLE_2) | instskip(SKIP_4) | instid1(SALU_CYCLE_1)
	s_xor_b32 s39, s39, 0x80000000
	s_wait_alu 0xfffe
	s_fmac_f32 s39, s27, s40
	s_wait_loadcnt 0x0
	s_wait_alu 0xfffe
	v_add_f32_e32 v1, s39, v1
	global_store_b64 v[5:6], v[1:2], off
.LBB1_8:                                ;   in Loop: Header=BB1_4 Depth=1
	s_wait_alu 0xfffe
	s_or_b32 exec_lo, exec_lo, s3
	s_and_saveexec_b32 s39, s1
	s_cbranch_execz .LBB1_11
; %bb.9:                                ;   in Loop: Header=BB1_4 Depth=1
	v_add_co_u32 v5, vcc_lo, v12, s34
	s_wait_alu 0xfffd
	v_add_co_ci_u32_e64 v6, null, s35, v13, vcc_lo
	v_mov_b32_e32 v1, v9
	s_mov_b32 s40, 0
.LBB1_10:                               ;   Parent Loop BB1_4 Depth=1
                                        ; =>  This Inner Loop Header: Depth=2
	s_delay_alu instid0(VALU_DEP_1) | instskip(SKIP_2) | instid1(VALU_DEP_3)
	v_ashrrev_i32_e32 v18, 31, v1
	v_mul_lo_u32 v19, s9, v1
	v_mad_co_u64_u32 v[7:8], null, s8, v1, 0
	v_mul_lo_u32 v18, s8, v18
	s_delay_alu instid0(VALU_DEP_1) | instskip(NEXT) | instid1(VALU_DEP_1)
	v_add3_u32 v8, v8, v18, v19
	v_lshlrev_b64_e32 v[7:8], 3, v[7:8]
	s_delay_alu instid0(VALU_DEP_1) | instskip(SKIP_1) | instid1(VALU_DEP_2)
	v_add_co_u32 v7, vcc_lo, s36, v7
	s_wait_alu 0xfffd
	v_add_co_ci_u32_e64 v8, null, s37, v8, vcc_lo
	global_load_b64 v[7:8], v[7:8], off
	global_load_b64 v[18:19], v[5:6], off offset:-4
	s_wait_loadcnt 0x1
	v_dual_mul_f32 v20, s38, v8 :: v_dual_add_nc_u32 v1, 0x400, v1
	v_mul_f32_e32 v8, s27, v8
	s_delay_alu instid0(VALU_DEP_2) | instskip(NEXT) | instid1(VALU_DEP_3)
	v_cmp_le_i32_e32 vcc_lo, s21, v1
	v_fma_f32 v20, s27, v7, -v20
	s_delay_alu instid0(VALU_DEP_3) | instskip(SKIP_3) | instid1(VALU_DEP_1)
	v_fmac_f32_e32 v8, s38, v7
	s_wait_alu 0xfffe
	s_or_b32 s40, vcc_lo, s40
	s_wait_loadcnt 0x0
	v_dual_add_f32 v7, v18, v20 :: v_dual_add_f32 v8, v8, v19
	global_store_b64 v[5:6], v[7:8], off offset:-4
	v_add_co_u32 v5, s3, 0x2000, v5
	s_wait_alu 0xf1ff
	v_add_co_ci_u32_e64 v6, null, 0, v6, s3
	s_wait_alu 0xfffe
	s_and_not1_b32 exec_lo, exec_lo, s40
	s_cbranch_execnz .LBB1_10
.LBB1_11:                               ;   in Loop: Header=BB1_4 Depth=1
	s_wait_alu 0xfffe
	s_or_b32 exec_lo, exec_lo, s39
	s_mov_b32 s3, 0
.LBB1_12:                               ;   in Loop: Header=BB1_4 Depth=1
	s_wait_alu 0xfffe
	s_and_b32 vcc_lo, exec_lo, s3
	s_wait_alu 0xfffe
	s_cbranch_vccz .LBB1_3
; %bb.13:                               ;   in Loop: Header=BB1_4 Depth=1
	v_dual_mov_b32 v5, 0 :: v_dual_mov_b32 v18, v0
	v_mov_b32_e32 v6, 0
	s_and_saveexec_b32 s36, s2
	s_cbranch_execz .LBB1_17
; %bb.14:                               ;   in Loop: Header=BB1_4 Depth=1
	v_mad_co_u64_u32 v[5:6], null, s12, s24, v[3:4]
	s_delay_alu instid0(VALU_DEP_1) | instskip(NEXT) | instid1(VALU_DEP_1)
	v_mov_b32_e32 v1, v6
	v_mad_co_u64_u32 v[6:7], null, s13, s24, v[1:2]
	v_add_co_u32 v7, vcc_lo, v14, s34
	s_wait_alu 0xfffd
	v_add_co_ci_u32_e64 v8, null, s35, v15, vcc_lo
	s_mov_b32 s34, 0
	s_mov_b32 s35, 0
.LBB1_15:                               ;   Parent Loop BB1_4 Depth=1
                                        ; =>  This Inner Loop Header: Depth=2
	global_load_b64 v[19:20], v[5:6], off offset:-4
	global_load_b64 v[21:22], v[7:8], off offset:-4
	s_wait_alu 0xfffe
	s_addk_co_i32 s35, 0x400
	v_add_co_u32 v5, vcc_lo, v5, s14
	s_wait_alu 0xfffe
	v_dual_mov_b32 v1, s35 :: v_dual_add_nc_u32 v18, s35, v0
	s_wait_alu 0xfffd
	v_add_co_ci_u32_e64 v6, null, s15, v6, vcc_lo
	s_delay_alu instid0(VALU_DEP_2) | instskip(SKIP_4) | instid1(VALU_DEP_1)
	v_cmp_le_i32_e32 vcc_lo, s26, v18
	s_or_b32 s34, vcc_lo, s34
	s_wait_loadcnt 0x1
	v_mul_f32_e32 v23, s38, v20
	v_mul_f32_e32 v20, s27, v20
	v_fmac_f32_e32 v20, s38, v19
	s_delay_alu instid0(VALU_DEP_3) | instskip(SKIP_1) | instid1(VALU_DEP_1)
	v_fma_f32 v23, s27, v19, -v23
	s_wait_loadcnt 0x0
	v_dual_add_f32 v20, v20, v22 :: v_dual_add_f32 v19, v21, v23
	global_store_b64 v[7:8], v[19:20], off offset:-4
	v_add_co_u32 v7, s3, 0x2000, v7
	s_wait_alu 0xf1ff
	v_add_co_ci_u32_e64 v8, null, 0, v8, s3
	s_wait_alu 0xfffe
	s_and_not1_b32 exec_lo, exec_lo, s34
	s_cbranch_execnz .LBB1_15
; %bb.16:                               ;   in Loop: Header=BB1_4 Depth=1
	s_or_b32 exec_lo, exec_lo, s34
	v_dual_mov_b32 v6, v2 :: v_dual_mov_b32 v5, v1
.LBB1_17:                               ;   in Loop: Header=BB1_4 Depth=1
	s_wait_alu 0xfffe
	s_or_b32 exec_lo, exec_lo, s36
	s_delay_alu instid0(SALU_CYCLE_1)
	s_mov_b32 s3, exec_lo
	v_cmpx_eq_u32_e64 s26, v18
	s_cbranch_execz .LBB1_2
; %bb.18:                               ;   in Loop: Header=BB1_4 Depth=1
	v_lshlrev_b64_e32 v[5:6], 3, v[5:6]
	s_load_b64 s[30:31], s[30:31], 0x0
	s_delay_alu instid0(VALU_DEP_1) | instskip(SKIP_1) | instid1(VALU_DEP_2)
	v_add_co_u32 v5, vcc_lo, v16, v5
	s_wait_alu 0xfffd
	v_add_co_ci_u32_e64 v6, null, v17, v6, vcc_lo
	global_load_b32 v1, v[5:6], off
	s_wait_kmcnt 0x0
	s_mul_f32 s31, s38, s31
	s_wait_alu 0xfffe
	s_delay_alu instid0(SALU_CYCLE_2) | instskip(SKIP_4) | instid1(SALU_CYCLE_1)
	s_xor_b32 s31, s31, 0x80000000
	s_wait_alu 0xfffe
	s_fmac_f32 s31, s27, s30
	s_wait_loadcnt 0x0
	s_wait_alu 0xfffe
	v_add_f32_e32 v1, s31, v1
	global_store_b64 v[5:6], v[1:2], off
	s_branch .LBB1_2
.LBB1_19:
	s_endpgm
	.section	.rodata,"a",@progbits
	.p2align	6, 0x0
	.amdhsa_kernel _ZL18rocblas_her_kernelILi1024EfPK19rocblas_complex_numIfEPS1_EvbiT0_T1_lllT2_llli
		.amdhsa_group_segment_fixed_size 0
		.amdhsa_private_segment_fixed_size 0
		.amdhsa_kernarg_size 84
		.amdhsa_user_sgpr_count 2
		.amdhsa_user_sgpr_dispatch_ptr 0
		.amdhsa_user_sgpr_queue_ptr 0
		.amdhsa_user_sgpr_kernarg_segment_ptr 1
		.amdhsa_user_sgpr_dispatch_id 0
		.amdhsa_user_sgpr_private_segment_size 0
		.amdhsa_wavefront_size32 1
		.amdhsa_uses_dynamic_stack 0
		.amdhsa_enable_private_segment 0
		.amdhsa_system_sgpr_workgroup_id_x 1
		.amdhsa_system_sgpr_workgroup_id_y 0
		.amdhsa_system_sgpr_workgroup_id_z 1
		.amdhsa_system_sgpr_workgroup_info 0
		.amdhsa_system_vgpr_workitem_id 0
		.amdhsa_next_free_vgpr 24
		.amdhsa_next_free_sgpr 42
		.amdhsa_reserve_vcc 1
		.amdhsa_float_round_mode_32 0
		.amdhsa_float_round_mode_16_64 0
		.amdhsa_float_denorm_mode_32 3
		.amdhsa_float_denorm_mode_16_64 3
		.amdhsa_fp16_overflow 0
		.amdhsa_workgroup_processor_mode 1
		.amdhsa_memory_ordered 1
		.amdhsa_forward_progress 1
		.amdhsa_inst_pref_size 11
		.amdhsa_round_robin_scheduling 0
		.amdhsa_exception_fp_ieee_invalid_op 0
		.amdhsa_exception_fp_denorm_src 0
		.amdhsa_exception_fp_ieee_div_zero 0
		.amdhsa_exception_fp_ieee_overflow 0
		.amdhsa_exception_fp_ieee_underflow 0
		.amdhsa_exception_fp_ieee_inexact 0
		.amdhsa_exception_int_div_zero 0
	.end_amdhsa_kernel
	.section	.text._ZL18rocblas_her_kernelILi1024EfPK19rocblas_complex_numIfEPS1_EvbiT0_T1_lllT2_llli,"axG",@progbits,_ZL18rocblas_her_kernelILi1024EfPK19rocblas_complex_numIfEPS1_EvbiT0_T1_lllT2_llli,comdat
.Lfunc_end1:
	.size	_ZL18rocblas_her_kernelILi1024EfPK19rocblas_complex_numIfEPS1_EvbiT0_T1_lllT2_llli, .Lfunc_end1-_ZL18rocblas_her_kernelILi1024EfPK19rocblas_complex_numIfEPS1_EvbiT0_T1_lllT2_llli
                                        ; -- End function
	.set _ZL18rocblas_her_kernelILi1024EfPK19rocblas_complex_numIfEPS1_EvbiT0_T1_lllT2_llli.num_vgpr, 24
	.set _ZL18rocblas_her_kernelILi1024EfPK19rocblas_complex_numIfEPS1_EvbiT0_T1_lllT2_llli.num_agpr, 0
	.set _ZL18rocblas_her_kernelILi1024EfPK19rocblas_complex_numIfEPS1_EvbiT0_T1_lllT2_llli.numbered_sgpr, 42
	.set _ZL18rocblas_her_kernelILi1024EfPK19rocblas_complex_numIfEPS1_EvbiT0_T1_lllT2_llli.num_named_barrier, 0
	.set _ZL18rocblas_her_kernelILi1024EfPK19rocblas_complex_numIfEPS1_EvbiT0_T1_lllT2_llli.private_seg_size, 0
	.set _ZL18rocblas_her_kernelILi1024EfPK19rocblas_complex_numIfEPS1_EvbiT0_T1_lllT2_llli.uses_vcc, 1
	.set _ZL18rocblas_her_kernelILi1024EfPK19rocblas_complex_numIfEPS1_EvbiT0_T1_lllT2_llli.uses_flat_scratch, 0
	.set _ZL18rocblas_her_kernelILi1024EfPK19rocblas_complex_numIfEPS1_EvbiT0_T1_lllT2_llli.has_dyn_sized_stack, 0
	.set _ZL18rocblas_her_kernelILi1024EfPK19rocblas_complex_numIfEPS1_EvbiT0_T1_lllT2_llli.has_recursion, 0
	.set _ZL18rocblas_her_kernelILi1024EfPK19rocblas_complex_numIfEPS1_EvbiT0_T1_lllT2_llli.has_indirect_call, 0
	.section	.AMDGPU.csdata,"",@progbits
; Kernel info:
; codeLenInByte = 1340
; TotalNumSgprs: 44
; NumVgprs: 24
; ScratchSize: 0
; MemoryBound: 0
; FloatMode: 240
; IeeeMode: 1
; LDSByteSize: 0 bytes/workgroup (compile time only)
; SGPRBlocks: 0
; VGPRBlocks: 2
; NumSGPRsForWavesPerEU: 44
; NumVGPRsForWavesPerEU: 24
; Occupancy: 16
; WaveLimiterHint : 0
; COMPUTE_PGM_RSRC2:SCRATCH_EN: 0
; COMPUTE_PGM_RSRC2:USER_SGPR: 2
; COMPUTE_PGM_RSRC2:TRAP_HANDLER: 0
; COMPUTE_PGM_RSRC2:TGID_X_EN: 1
; COMPUTE_PGM_RSRC2:TGID_Y_EN: 0
; COMPUTE_PGM_RSRC2:TGID_Z_EN: 1
; COMPUTE_PGM_RSRC2:TIDIG_COMP_CNT: 0
	.section	.text._ZL18rocblas_her_kernelILi1024EPKdPK19rocblas_complex_numIdEPS3_EvbiT0_T1_lllT2_llli,"axG",@progbits,_ZL18rocblas_her_kernelILi1024EPKdPK19rocblas_complex_numIdEPS3_EvbiT0_T1_lllT2_llli,comdat
	.globl	_ZL18rocblas_her_kernelILi1024EPKdPK19rocblas_complex_numIdEPS3_EvbiT0_T1_lllT2_llli ; -- Begin function _ZL18rocblas_her_kernelILi1024EPKdPK19rocblas_complex_numIdEPS3_EvbiT0_T1_lllT2_llli
	.p2align	8
	.type	_ZL18rocblas_her_kernelILi1024EPKdPK19rocblas_complex_numIdEPS3_EvbiT0_T1_lllT2_llli,@function
_ZL18rocblas_her_kernelILi1024EPKdPK19rocblas_complex_numIdEPS3_EvbiT0_T1_lllT2_llli: ; @_ZL18rocblas_her_kernelILi1024EPKdPK19rocblas_complex_numIdEPS3_EvbiT0_T1_lllT2_llli
; %bb.0:
	s_load_b32 s33, s[0:1], 0x50
	s_lshr_b32 s20, ttmp7, 16
	s_wait_kmcnt 0x0
	s_cmp_ge_u32 s20, s33
	s_cbranch_scc1 .LBB2_19
; %bb.1:
	s_clause 0x2
	s_load_b64 s[24:25], s[0:1], 0x0
	s_load_b512 s[4:19], s[0:1], 0x8
	s_load_b64 s[26:27], s[0:1], 0x48
	s_mov_b32 s22, ttmp9
	v_cmp_eq_u32_e64 s0, 0, v0
	s_mov_b32 s21, 0
	s_wait_kmcnt 0x0
	v_cmp_gt_i32_e32 vcc_lo, s25, v0
	v_mad_co_u64_u32 v[1:2], null, s10, v0, 0
	v_mov_b32_e32 v3, 0
	s_bitcmp1_b32 s24, 0
	v_cndmask_b32_e32 v4, 0, v0, vcc_lo
	s_cselect_b32 s1, -1, 0
	s_lshl_b64 s[2:3], s[8:9], 4
	s_lshl_b64 s[8:9], s[18:19], 4
	s_add_nc_u64 s[6:7], s[6:7], s[2:3]
	v_lshlrev_b32_e32 v7, 4, v4
	v_mad_co_u64_u32 v[4:5], null, s11, v0, v[2:3]
	s_add_nc_u64 s[2:3], s[14:15], s[8:9]
	s_ashr_i32 s23, ttmp9, 31
	s_xor_b32 s24, s1, -1
	s_mul_u64 s[16:17], s[16:17], s[22:23]
	s_add_co_i32 s18, ttmp9, 1
	s_lshl_b64 s[16:17], s[16:17], 4
	v_mov_b32_e32 v2, v4
	v_add_co_u32 v6, s1, s2, v7
	s_delay_alu instid0(VALU_DEP_1)
	v_add_co_ci_u32_e64 v8, null, s3, 0, s1
	s_ashr_i32 s19, s18, 31
	v_add_co_u32 v16, vcc_lo, v6, s16
	s_wait_alu 0xfffd
	v_add_co_ci_u32_e64 v17, null, s17, v8, vcc_lo
	s_add_nc_u64 s[16:17], s[16:17], s[8:9]
	s_lshl_b64 s[2:3], s[18:19], 4
	v_lshlrev_b64_e32 v[1:2], 4, v[1:2]
	s_wait_alu 0xfffe
	s_add_nc_u64 s[8:9], s[16:17], s[2:3]
	v_add_nc_u32_e32 v15, s18, v0
	s_add_nc_u64 s[8:9], s[14:15], s[8:9]
	s_add_nc_u64 s[14:15], s[14:15], s[16:17]
	v_add_co_u32 v4, s3, s8, v7
	s_wait_alu 0xf1ff
	v_add_co_ci_u32_e64 v5, null, s9, 0, s3
	v_cmp_gt_i32_e64 s1, s25, v15
	s_delay_alu instid0(VALU_DEP_3) | instskip(SKIP_1) | instid1(VALU_DEP_3)
	v_add_co_u32 v18, vcc_lo, v4, 8
	s_wait_alu 0xfffd
	v_add_co_ci_u32_e64 v19, null, 0, v5, vcc_lo
	v_add_co_u32 v1, vcc_lo, s6, v1
	s_wait_alu 0xfffd
	v_add_co_ci_u32_e64 v2, null, s7, v2, vcc_lo
	v_cmp_gt_i32_e64 s2, ttmp9, v0
	s_delay_alu instid0(VALU_DEP_3)
	v_add_co_u32 v5, vcc_lo, v1, 8
	v_add_co_u32 v1, s3, s14, v7
	s_wait_alu 0xfffd
	v_add_co_ci_u32_e64 v6, null, 0, v2, vcc_lo
	s_wait_alu 0xf1ff
	v_add_co_ci_u32_e64 v2, null, s15, 0, s3
	v_add_co_u32 v20, vcc_lo, v1, 8
	s_mul_u64 s[30:31], s[10:11], s[22:23]
	s_wait_alu 0xfffd
	v_add_co_ci_u32_e64 v21, null, 0, v2, vcc_lo
	s_lshl_b64 s[8:9], s[26:27], 4
	s_lshl_b64 s[14:15], s[12:13], 4
	;; [unrolled: 1-line block ×5, first 2 shown]
	s_branch .LBB2_4
.LBB2_2:                                ;   in Loop: Header=BB2_4 Depth=1
	s_wait_alu 0xfffe
	s_or_b32 exec_lo, exec_lo, s3
.LBB2_3:                                ;   in Loop: Header=BB2_4 Depth=1
	s_add_co_i32 s20, s20, 0x10000
	s_wait_alu 0xfffe
	s_cmp_lt_u32 s20, s33
	s_cbranch_scc0 .LBB2_19
.LBB2_4:                                ; =>This Loop Header: Depth=1
                                        ;     Child Loop BB2_10 Depth 2
                                        ;     Child Loop BB2_15 Depth 2
	global_load_b64 v[1:2], v3, s[4:5]
	s_wait_loadcnt 0x0
	v_cmp_eq_f64_e32 vcc_lo, 0, v[1:2]
	s_cbranch_vccnz .LBB2_3
; %bb.5:                                ;   in Loop: Header=BB2_4 Depth=1
	s_mul_u64 s[16:17], s[12:13], s[20:21]
	s_mul_u64 s[40:41], s[26:27], s[20:21]
	s_wait_alu 0xfffe
	s_lshl_b64 s[16:17], s[16:17], 4
	s_lshl_b64 s[40:41], s[40:41], 4
	s_wait_alu 0xfffe
	s_add_nc_u64 s[38:39], s[6:7], s[16:17]
	v_add_co_u32 v22, vcc_lo, v16, s40
	s_wait_alu 0xfffe
	s_add_nc_u64 s[16:17], s[38:39], s[30:31]
	s_wait_alu 0xfffd
	v_add_co_ci_u32_e64 v23, null, s41, v17, vcc_lo
	s_load_b128 s[16:19], s[16:17], 0x0
	s_mul_u64 s[36:37], s[8:9], s[20:21]
	s_and_b32 vcc_lo, exec_lo, s24
	s_mov_b32 s3, -1
	s_wait_kmcnt 0x0
	v_mul_f64_e64 v[7:8], s[18:19], 0
	v_mul_f64_e32 v[9:10], s[18:19], v[1:2]
	s_delay_alu instid0(VALU_DEP_2) | instskip(NEXT) | instid1(VALU_DEP_2)
	v_fma_f64 v[7:8], v[1:2], s[16:17], v[7:8]
	v_fma_f64 v[9:10], s[16:17], 0, -v[9:10]
	s_wait_alu 0xfffe
	s_cbranch_vccz .LBB2_12
; %bb.6:                                ;   in Loop: Header=BB2_4 Depth=1
	s_and_saveexec_b32 s3, s0
	s_cbranch_execz .LBB2_8
; %bb.7:                                ;   in Loop: Header=BB2_4 Depth=1
	v_add_co_u32 v11, vcc_lo, v22, s34
	s_wait_alu 0xfffd
	v_add_co_ci_u32_e64 v12, null, s35, v23, vcc_lo
	s_delay_alu instid0(VALU_DEP_3) | instskip(SKIP_4) | instid1(VALU_DEP_1)
	v_mul_f64_e32 v[13:14], s[18:19], v[9:10]
	v_mov_b32_e32 v4, v3
	global_load_b64 v[1:2], v[11:12], off
	v_fma_f64 v[13:14], s[16:17], v[7:8], -v[13:14]
	s_wait_loadcnt 0x0
	v_add_f64_e32 v[1:2], v[13:14], v[1:2]
	global_store_b128 v[11:12], v[1:4], off
.LBB2_8:                                ;   in Loop: Header=BB2_4 Depth=1
	s_wait_alu 0xfffe
	s_or_b32 exec_lo, exec_lo, s3
	s_and_saveexec_b32 s23, s1
	s_cbranch_execz .LBB2_11
; %bb.9:                                ;   in Loop: Header=BB2_4 Depth=1
	v_add_co_u32 v1, vcc_lo, v18, s36
	s_wait_alu 0xfffd
	v_add_co_ci_u32_e64 v2, null, s37, v19, vcc_lo
	v_mov_b32_e32 v4, v15
	s_mov_b32 s40, 0
.LBB2_10:                               ;   Parent Loop BB2_4 Depth=1
                                        ; =>  This Inner Loop Header: Depth=2
	s_delay_alu instid0(VALU_DEP_1) | instskip(SKIP_3) | instid1(VALU_DEP_4)
	v_ashrrev_i32_e32 v13, 31, v4
	v_mul_lo_u32 v14, s11, v4
	v_mad_co_u64_u32 v[11:12], null, s10, v4, 0
	v_add_nc_u32_e32 v4, 0x400, v4
	v_mul_lo_u32 v13, s10, v13
	s_delay_alu instid0(VALU_DEP_1) | instskip(NEXT) | instid1(VALU_DEP_1)
	v_add3_u32 v12, v12, v13, v14
	v_lshlrev_b64_e32 v[11:12], 4, v[11:12]
	s_delay_alu instid0(VALU_DEP_1) | instskip(SKIP_1) | instid1(VALU_DEP_2)
	v_add_co_u32 v11, vcc_lo, s38, v11
	s_wait_alu 0xfffd
	v_add_co_ci_u32_e64 v12, null, s39, v12, vcc_lo
	v_cmp_le_i32_e32 vcc_lo, s25, v4
	global_load_b128 v[11:14], v[11:12], off
	global_load_b128 v[24:27], v[1:2], off offset:-8
	s_wait_alu 0xfffe
	s_or_b32 s40, vcc_lo, s40
	s_wait_loadcnt 0x1
	v_mul_f64_e32 v[28:29], v[9:10], v[13:14]
	v_mul_f64_e32 v[13:14], v[7:8], v[13:14]
	s_delay_alu instid0(VALU_DEP_2) | instskip(NEXT) | instid1(VALU_DEP_2)
	v_fma_f64 v[28:29], v[7:8], v[11:12], -v[28:29]
	v_fma_f64 v[13:14], v[9:10], v[11:12], v[13:14]
	s_wait_loadcnt 0x0
	s_delay_alu instid0(VALU_DEP_2) | instskip(NEXT) | instid1(VALU_DEP_2)
	v_add_f64_e32 v[11:12], v[24:25], v[28:29]
	v_add_f64_e32 v[13:14], v[13:14], v[26:27]
	global_store_b128 v[1:2], v[11:14], off offset:-8
	v_add_co_u32 v1, s3, 0x4000, v1
	s_wait_alu 0xf1ff
	v_add_co_ci_u32_e64 v2, null, 0, v2, s3
	s_wait_alu 0xfffe
	s_and_not1_b32 exec_lo, exec_lo, s40
	s_cbranch_execnz .LBB2_10
.LBB2_11:                               ;   in Loop: Header=BB2_4 Depth=1
	s_wait_alu 0xfffe
	s_or_b32 exec_lo, exec_lo, s23
	s_mov_b32 s3, 0
.LBB2_12:                               ;   in Loop: Header=BB2_4 Depth=1
	s_wait_alu 0xfffe
	s_and_b32 vcc_lo, exec_lo, s3
	s_wait_alu 0xfffe
	s_cbranch_vccz .LBB2_3
; %bb.13:                               ;   in Loop: Header=BB2_4 Depth=1
	v_dual_mov_b32 v1, 0 :: v_dual_mov_b32 v4, v0
	v_mov_b32_e32 v2, 0
	s_and_saveexec_b32 s23, s2
	s_cbranch_execz .LBB2_17
; %bb.14:                               ;   in Loop: Header=BB2_4 Depth=1
	v_mad_co_u64_u32 v[11:12], null, s14, s20, v[5:6]
	v_add_co_u32 v13, vcc_lo, v20, s36
	s_wait_alu 0xfffd
	v_add_co_ci_u32_e64 v14, null, s37, v21, vcc_lo
	s_mov_b32 s36, 0
	s_mov_b32 s37, 0
	v_mov_b32_e32 v1, v12
	s_delay_alu instid0(VALU_DEP_1) | instskip(NEXT) | instid1(VALU_DEP_1)
	v_mad_co_u64_u32 v[1:2], null, s15, s20, v[1:2]
	v_mov_b32_e32 v12, v1
.LBB2_15:                               ;   Parent Loop BB2_4 Depth=1
                                        ; =>  This Inner Loop Header: Depth=2
	global_load_b128 v[24:27], v[11:12], off offset:-8
	global_load_b128 v[28:31], v[13:14], off offset:-8
	s_wait_alu 0xfffe
	s_addk_co_i32 s37, 0x400
	v_add_co_u32 v11, vcc_lo, v11, s28
	s_wait_alu 0xfffe
	v_add_nc_u32_e32 v4, s37, v0
	s_wait_alu 0xfffd
	v_add_co_ci_u32_e64 v12, null, s29, v12, vcc_lo
	s_delay_alu instid0(VALU_DEP_2) | instskip(SKIP_4) | instid1(VALU_DEP_2)
	v_cmp_le_i32_e32 vcc_lo, s22, v4
	s_or_b32 s36, vcc_lo, s36
	s_wait_loadcnt 0x1
	v_mul_f64_e32 v[1:2], v[9:10], v[26:27]
	v_mul_f64_e32 v[26:27], v[7:8], v[26:27]
	v_fma_f64 v[1:2], v[7:8], v[24:25], -v[1:2]
	s_delay_alu instid0(VALU_DEP_2) | instskip(SKIP_1) | instid1(VALU_DEP_2)
	v_fma_f64 v[26:27], v[9:10], v[24:25], v[26:27]
	s_wait_loadcnt 0x0
	v_add_f64_e32 v[24:25], v[28:29], v[1:2]
	s_delay_alu instid0(VALU_DEP_2)
	v_add_f64_e32 v[26:27], v[26:27], v[30:31]
	v_mov_b32_e32 v2, s37
	global_store_b128 v[13:14], v[24:27], off offset:-8
	v_add_co_u32 v13, s3, 0x4000, v13
	s_wait_alu 0xf1ff
	v_add_co_ci_u32_e64 v14, null, 0, v14, s3
	s_wait_alu 0xfffe
	s_and_not1_b32 exec_lo, exec_lo, s36
	s_cbranch_execnz .LBB2_15
; %bb.16:                               ;   in Loop: Header=BB2_4 Depth=1
	s_or_b32 exec_lo, exec_lo, s36
	v_mov_b32_e32 v1, v2
	v_mov_b32_e32 v2, v3
.LBB2_17:                               ;   in Loop: Header=BB2_4 Depth=1
	s_wait_alu 0xfffe
	s_or_b32 exec_lo, exec_lo, s23
	s_delay_alu instid0(SALU_CYCLE_1)
	s_mov_b32 s3, exec_lo
	v_cmpx_eq_u32_e64 s22, v4
	s_cbranch_execz .LBB2_2
; %bb.18:                               ;   in Loop: Header=BB2_4 Depth=1
	v_lshlrev_b64_e32 v[1:2], 4, v[1:2]
	v_mul_f64_e32 v[9:10], s[18:19], v[9:10]
	v_mov_b32_e32 v4, v3
	s_delay_alu instid0(VALU_DEP_3) | instskip(SKIP_1) | instid1(VALU_DEP_4)
	v_add_co_u32 v11, vcc_lo, v22, v1
	s_wait_alu 0xfffd
	v_add_co_ci_u32_e64 v12, null, v23, v2, vcc_lo
	global_load_b64 v[1:2], v[11:12], off
	v_fma_f64 v[7:8], s[16:17], v[7:8], -v[9:10]
	s_wait_loadcnt 0x0
	s_delay_alu instid0(VALU_DEP_1)
	v_add_f64_e32 v[1:2], v[7:8], v[1:2]
	global_store_b128 v[11:12], v[1:4], off
	s_branch .LBB2_2
.LBB2_19:
	s_endpgm
	.section	.rodata,"a",@progbits
	.p2align	6, 0x0
	.amdhsa_kernel _ZL18rocblas_her_kernelILi1024EPKdPK19rocblas_complex_numIdEPS3_EvbiT0_T1_lllT2_llli
		.amdhsa_group_segment_fixed_size 0
		.amdhsa_private_segment_fixed_size 0
		.amdhsa_kernarg_size 84
		.amdhsa_user_sgpr_count 2
		.amdhsa_user_sgpr_dispatch_ptr 0
		.amdhsa_user_sgpr_queue_ptr 0
		.amdhsa_user_sgpr_kernarg_segment_ptr 1
		.amdhsa_user_sgpr_dispatch_id 0
		.amdhsa_user_sgpr_private_segment_size 0
		.amdhsa_wavefront_size32 1
		.amdhsa_uses_dynamic_stack 0
		.amdhsa_enable_private_segment 0
		.amdhsa_system_sgpr_workgroup_id_x 1
		.amdhsa_system_sgpr_workgroup_id_y 0
		.amdhsa_system_sgpr_workgroup_id_z 1
		.amdhsa_system_sgpr_workgroup_info 0
		.amdhsa_system_vgpr_workitem_id 0
		.amdhsa_next_free_vgpr 32
		.amdhsa_next_free_sgpr 42
		.amdhsa_reserve_vcc 1
		.amdhsa_float_round_mode_32 0
		.amdhsa_float_round_mode_16_64 0
		.amdhsa_float_denorm_mode_32 3
		.amdhsa_float_denorm_mode_16_64 3
		.amdhsa_fp16_overflow 0
		.amdhsa_workgroup_processor_mode 1
		.amdhsa_memory_ordered 1
		.amdhsa_forward_progress 1
		.amdhsa_inst_pref_size 11
		.amdhsa_round_robin_scheduling 0
		.amdhsa_exception_fp_ieee_invalid_op 0
		.amdhsa_exception_fp_denorm_src 0
		.amdhsa_exception_fp_ieee_div_zero 0
		.amdhsa_exception_fp_ieee_overflow 0
		.amdhsa_exception_fp_ieee_underflow 0
		.amdhsa_exception_fp_ieee_inexact 0
		.amdhsa_exception_int_div_zero 0
	.end_amdhsa_kernel
	.section	.text._ZL18rocblas_her_kernelILi1024EPKdPK19rocblas_complex_numIdEPS3_EvbiT0_T1_lllT2_llli,"axG",@progbits,_ZL18rocblas_her_kernelILi1024EPKdPK19rocblas_complex_numIdEPS3_EvbiT0_T1_lllT2_llli,comdat
.Lfunc_end2:
	.size	_ZL18rocblas_her_kernelILi1024EPKdPK19rocblas_complex_numIdEPS3_EvbiT0_T1_lllT2_llli, .Lfunc_end2-_ZL18rocblas_her_kernelILi1024EPKdPK19rocblas_complex_numIdEPS3_EvbiT0_T1_lllT2_llli
                                        ; -- End function
	.set _ZL18rocblas_her_kernelILi1024EPKdPK19rocblas_complex_numIdEPS3_EvbiT0_T1_lllT2_llli.num_vgpr, 32
	.set _ZL18rocblas_her_kernelILi1024EPKdPK19rocblas_complex_numIdEPS3_EvbiT0_T1_lllT2_llli.num_agpr, 0
	.set _ZL18rocblas_her_kernelILi1024EPKdPK19rocblas_complex_numIdEPS3_EvbiT0_T1_lllT2_llli.numbered_sgpr, 42
	.set _ZL18rocblas_her_kernelILi1024EPKdPK19rocblas_complex_numIdEPS3_EvbiT0_T1_lllT2_llli.num_named_barrier, 0
	.set _ZL18rocblas_her_kernelILi1024EPKdPK19rocblas_complex_numIdEPS3_EvbiT0_T1_lllT2_llli.private_seg_size, 0
	.set _ZL18rocblas_her_kernelILi1024EPKdPK19rocblas_complex_numIdEPS3_EvbiT0_T1_lllT2_llli.uses_vcc, 1
	.set _ZL18rocblas_her_kernelILi1024EPKdPK19rocblas_complex_numIdEPS3_EvbiT0_T1_lllT2_llli.uses_flat_scratch, 0
	.set _ZL18rocblas_her_kernelILi1024EPKdPK19rocblas_complex_numIdEPS3_EvbiT0_T1_lllT2_llli.has_dyn_sized_stack, 0
	.set _ZL18rocblas_her_kernelILi1024EPKdPK19rocblas_complex_numIdEPS3_EvbiT0_T1_lllT2_llli.has_recursion, 0
	.set _ZL18rocblas_her_kernelILi1024EPKdPK19rocblas_complex_numIdEPS3_EvbiT0_T1_lllT2_llli.has_indirect_call, 0
	.section	.AMDGPU.csdata,"",@progbits
; Kernel info:
; codeLenInByte = 1312
; TotalNumSgprs: 44
; NumVgprs: 32
; ScratchSize: 0
; MemoryBound: 0
; FloatMode: 240
; IeeeMode: 1
; LDSByteSize: 0 bytes/workgroup (compile time only)
; SGPRBlocks: 0
; VGPRBlocks: 3
; NumSGPRsForWavesPerEU: 44
; NumVGPRsForWavesPerEU: 32
; Occupancy: 16
; WaveLimiterHint : 0
; COMPUTE_PGM_RSRC2:SCRATCH_EN: 0
; COMPUTE_PGM_RSRC2:USER_SGPR: 2
; COMPUTE_PGM_RSRC2:TRAP_HANDLER: 0
; COMPUTE_PGM_RSRC2:TGID_X_EN: 1
; COMPUTE_PGM_RSRC2:TGID_Y_EN: 0
; COMPUTE_PGM_RSRC2:TGID_Z_EN: 1
; COMPUTE_PGM_RSRC2:TIDIG_COMP_CNT: 0
	.section	.text._ZL18rocblas_her_kernelILi1024EdPK19rocblas_complex_numIdEPS1_EvbiT0_T1_lllT2_llli,"axG",@progbits,_ZL18rocblas_her_kernelILi1024EdPK19rocblas_complex_numIdEPS1_EvbiT0_T1_lllT2_llli,comdat
	.globl	_ZL18rocblas_her_kernelILi1024EdPK19rocblas_complex_numIdEPS1_EvbiT0_T1_lllT2_llli ; -- Begin function _ZL18rocblas_her_kernelILi1024EdPK19rocblas_complex_numIdEPS1_EvbiT0_T1_lllT2_llli
	.p2align	8
	.type	_ZL18rocblas_her_kernelILi1024EdPK19rocblas_complex_numIdEPS1_EvbiT0_T1_lllT2_llli,@function
_ZL18rocblas_her_kernelILi1024EdPK19rocblas_complex_numIdEPS1_EvbiT0_T1_lllT2_llli: ; @_ZL18rocblas_her_kernelILi1024EdPK19rocblas_complex_numIdEPS1_EvbiT0_T1_lllT2_llli
; %bb.0:
	s_load_b32 s33, s[0:1], 0x50
	s_lshr_b32 s20, ttmp7, 16
	s_wait_kmcnt 0x0
	s_cmp_ge_u32 s20, s33
	s_cbranch_scc1 .LBB3_19
; %bb.1:
	s_clause 0x2
	s_load_b64 s[24:25], s[0:1], 0x0
	s_load_b512 s[4:19], s[0:1], 0x8
	s_load_b64 s[26:27], s[0:1], 0x48
	s_mov_b32 s22, ttmp9
	v_cmp_eq_u32_e64 s0, 0, v0
	s_mov_b32 s21, 0
	s_wait_kmcnt 0x0
	v_cmp_gt_i32_e32 vcc_lo, s25, v0
	v_mad_co_u64_u32 v[1:2], null, s10, v0, 0
	v_mov_b32_e32 v3, 0
	s_bitcmp1_b32 s24, 0
	v_cndmask_b32_e32 v4, 0, v0, vcc_lo
	s_cselect_b32 s1, -1, 0
	s_lshl_b64 s[2:3], s[8:9], 4
	s_lshl_b64 s[8:9], s[18:19], 4
	s_add_nc_u64 s[6:7], s[6:7], s[2:3]
	v_lshlrev_b32_e32 v7, 4, v4
	v_mad_co_u64_u32 v[4:5], null, s11, v0, v[2:3]
	s_add_nc_u64 s[2:3], s[14:15], s[8:9]
	s_ashr_i32 s23, ttmp9, 31
	v_cmp_neq_f64_e64 s40, s[4:5], 0
	s_xor_b32 s24, s1, -1
	s_mul_u64 s[16:17], s[16:17], s[22:23]
	s_add_co_i32 s18, ttmp9, 1
	v_mov_b32_e32 v2, v4
	v_add_co_u32 v6, s1, s2, v7
	s_delay_alu instid0(VALU_DEP_1)
	v_add_co_ci_u32_e64 v8, null, s3, 0, s1
	s_lshl_b64 s[16:17], s[16:17], 4
	s_ashr_i32 s19, s18, 31
	v_add_co_u32 v16, vcc_lo, v6, s16
	s_wait_alu 0xfffd
	v_add_co_ci_u32_e64 v17, null, s17, v8, vcc_lo
	s_add_nc_u64 s[16:17], s[16:17], s[8:9]
	s_lshl_b64 s[2:3], s[18:19], 4
	v_lshlrev_b64_e32 v[1:2], 4, v[1:2]
	s_wait_alu 0xfffe
	s_add_nc_u64 s[8:9], s[16:17], s[2:3]
	v_add_nc_u32_e32 v15, s18, v0
	s_add_nc_u64 s[8:9], s[14:15], s[8:9]
	s_add_nc_u64 s[14:15], s[14:15], s[16:17]
	v_add_co_u32 v4, s3, s8, v7
	s_wait_alu 0xf1ff
	v_add_co_ci_u32_e64 v5, null, s9, 0, s3
	v_cmp_gt_i32_e64 s1, s25, v15
	s_delay_alu instid0(VALU_DEP_3) | instskip(SKIP_1) | instid1(VALU_DEP_3)
	v_add_co_u32 v18, vcc_lo, v4, 8
	s_wait_alu 0xfffd
	v_add_co_ci_u32_e64 v19, null, 0, v5, vcc_lo
	v_add_co_u32 v1, vcc_lo, s6, v1
	s_wait_alu 0xfffd
	v_add_co_ci_u32_e64 v2, null, s7, v2, vcc_lo
	v_cmp_gt_i32_e64 s2, ttmp9, v0
	s_delay_alu instid0(VALU_DEP_3)
	v_add_co_u32 v5, vcc_lo, v1, 8
	v_add_co_u32 v1, s3, s14, v7
	s_wait_alu 0xfffd
	v_add_co_ci_u32_e64 v6, null, 0, v2, vcc_lo
	s_wait_alu 0xf1ff
	v_add_co_ci_u32_e64 v2, null, s15, 0, s3
	v_add_co_u32 v20, vcc_lo, v1, 8
	s_mul_u64 s[30:31], s[10:11], s[22:23]
	s_wait_alu 0xfffd
	v_add_co_ci_u32_e64 v21, null, 0, v2, vcc_lo
	s_lshl_b64 s[8:9], s[26:27], 4
	s_lshl_b64 s[14:15], s[12:13], 4
	;; [unrolled: 1-line block ×5, first 2 shown]
	s_branch .LBB3_4
.LBB3_2:                                ;   in Loop: Header=BB3_4 Depth=1
	s_wait_alu 0xfffe
	s_or_b32 exec_lo, exec_lo, s3
.LBB3_3:                                ;   in Loop: Header=BB3_4 Depth=1
	s_add_co_i32 s20, s20, 0x10000
	s_wait_alu 0xfffe
	s_cmp_lt_u32 s20, s33
	s_cbranch_scc0 .LBB3_19
.LBB3_4:                                ; =>This Loop Header: Depth=1
                                        ;     Child Loop BB3_10 Depth 2
                                        ;     Child Loop BB3_15 Depth 2
	s_and_not1_b32 vcc_lo, exec_lo, s40
	s_wait_alu 0xfffe
	s_cbranch_vccnz .LBB3_3
; %bb.5:                                ;   in Loop: Header=BB3_4 Depth=1
	s_mul_u64 s[16:17], s[12:13], s[20:21]
	s_mul_u64 s[42:43], s[26:27], s[20:21]
	s_wait_alu 0xfffe
	s_lshl_b64 s[16:17], s[16:17], 4
	s_lshl_b64 s[42:43], s[42:43], 4
	s_wait_alu 0xfffe
	s_add_nc_u64 s[38:39], s[6:7], s[16:17]
	v_add_co_u32 v22, vcc_lo, v16, s42
	s_wait_alu 0xfffe
	s_add_nc_u64 s[16:17], s[38:39], s[30:31]
	s_wait_alu 0xfffd
	v_add_co_ci_u32_e64 v23, null, s43, v17, vcc_lo
	s_load_b128 s[16:19], s[16:17], 0x0
	s_mul_u64 s[36:37], s[8:9], s[20:21]
	s_and_b32 vcc_lo, exec_lo, s24
	s_mov_b32 s3, -1
	s_wait_kmcnt 0x0
	v_mul_f64_e64 v[1:2], s[18:19], 0
	v_mul_f64_e64 v[9:10], s[4:5], s[18:19]
	s_delay_alu instid0(VALU_DEP_2) | instskip(NEXT) | instid1(VALU_DEP_2)
	v_fma_f64 v[7:8], s[4:5], s[16:17], v[1:2]
	v_fma_f64 v[9:10], s[16:17], 0, -v[9:10]
	s_wait_alu 0xfffe
	s_cbranch_vccz .LBB3_12
; %bb.6:                                ;   in Loop: Header=BB3_4 Depth=1
	s_and_saveexec_b32 s3, s0
	s_cbranch_execz .LBB3_8
; %bb.7:                                ;   in Loop: Header=BB3_4 Depth=1
	v_add_co_u32 v11, vcc_lo, v22, s34
	s_wait_alu 0xfffd
	v_add_co_ci_u32_e64 v12, null, s35, v23, vcc_lo
	s_delay_alu instid0(VALU_DEP_3) | instskip(SKIP_4) | instid1(VALU_DEP_1)
	v_mul_f64_e32 v[13:14], s[18:19], v[9:10]
	v_mov_b32_e32 v4, v3
	global_load_b64 v[1:2], v[11:12], off
	v_fma_f64 v[13:14], s[16:17], v[7:8], -v[13:14]
	s_wait_loadcnt 0x0
	v_add_f64_e32 v[1:2], v[13:14], v[1:2]
	global_store_b128 v[11:12], v[1:4], off
.LBB3_8:                                ;   in Loop: Header=BB3_4 Depth=1
	s_wait_alu 0xfffe
	s_or_b32 exec_lo, exec_lo, s3
	s_and_saveexec_b32 s23, s1
	s_cbranch_execz .LBB3_11
; %bb.9:                                ;   in Loop: Header=BB3_4 Depth=1
	v_add_co_u32 v1, vcc_lo, v18, s36
	s_wait_alu 0xfffd
	v_add_co_ci_u32_e64 v2, null, s37, v19, vcc_lo
	v_mov_b32_e32 v4, v15
	s_mov_b32 s41, 0
.LBB3_10:                               ;   Parent Loop BB3_4 Depth=1
                                        ; =>  This Inner Loop Header: Depth=2
	s_delay_alu instid0(VALU_DEP_1) | instskip(SKIP_3) | instid1(VALU_DEP_4)
	v_ashrrev_i32_e32 v13, 31, v4
	v_mul_lo_u32 v14, s11, v4
	v_mad_co_u64_u32 v[11:12], null, s10, v4, 0
	v_add_nc_u32_e32 v4, 0x400, v4
	v_mul_lo_u32 v13, s10, v13
	s_delay_alu instid0(VALU_DEP_1) | instskip(NEXT) | instid1(VALU_DEP_1)
	v_add3_u32 v12, v12, v13, v14
	v_lshlrev_b64_e32 v[11:12], 4, v[11:12]
	s_delay_alu instid0(VALU_DEP_1) | instskip(SKIP_1) | instid1(VALU_DEP_2)
	v_add_co_u32 v11, vcc_lo, s38, v11
	s_wait_alu 0xfffd
	v_add_co_ci_u32_e64 v12, null, s39, v12, vcc_lo
	v_cmp_le_i32_e32 vcc_lo, s25, v4
	global_load_b128 v[11:14], v[11:12], off
	global_load_b128 v[24:27], v[1:2], off offset:-8
	s_or_b32 s41, vcc_lo, s41
	s_wait_loadcnt 0x1
	v_mul_f64_e32 v[28:29], v[9:10], v[13:14]
	v_mul_f64_e32 v[13:14], v[7:8], v[13:14]
	s_delay_alu instid0(VALU_DEP_2) | instskip(NEXT) | instid1(VALU_DEP_2)
	v_fma_f64 v[28:29], v[7:8], v[11:12], -v[28:29]
	v_fma_f64 v[13:14], v[9:10], v[11:12], v[13:14]
	s_wait_loadcnt 0x0
	s_delay_alu instid0(VALU_DEP_2) | instskip(NEXT) | instid1(VALU_DEP_2)
	v_add_f64_e32 v[11:12], v[24:25], v[28:29]
	v_add_f64_e32 v[13:14], v[13:14], v[26:27]
	global_store_b128 v[1:2], v[11:14], off offset:-8
	v_add_co_u32 v1, s3, 0x4000, v1
	s_wait_alu 0xf1ff
	v_add_co_ci_u32_e64 v2, null, 0, v2, s3
	s_and_not1_b32 exec_lo, exec_lo, s41
	s_cbranch_execnz .LBB3_10
.LBB3_11:                               ;   in Loop: Header=BB3_4 Depth=1
	s_wait_alu 0xfffe
	s_or_b32 exec_lo, exec_lo, s23
	s_mov_b32 s3, 0
.LBB3_12:                               ;   in Loop: Header=BB3_4 Depth=1
	s_wait_alu 0xfffe
	s_and_b32 vcc_lo, exec_lo, s3
	s_wait_alu 0xfffe
	s_cbranch_vccz .LBB3_3
; %bb.13:                               ;   in Loop: Header=BB3_4 Depth=1
	v_dual_mov_b32 v1, 0 :: v_dual_mov_b32 v4, v0
	v_mov_b32_e32 v2, 0
	s_and_saveexec_b32 s23, s2
	s_cbranch_execz .LBB3_17
; %bb.14:                               ;   in Loop: Header=BB3_4 Depth=1
	v_mad_co_u64_u32 v[11:12], null, s14, s20, v[5:6]
	v_add_co_u32 v13, vcc_lo, v20, s36
	s_wait_alu 0xfffd
	v_add_co_ci_u32_e64 v14, null, s37, v21, vcc_lo
	s_mov_b32 s36, 0
	s_mov_b32 s37, 0
	v_mov_b32_e32 v1, v12
	s_delay_alu instid0(VALU_DEP_1) | instskip(NEXT) | instid1(VALU_DEP_1)
	v_mad_co_u64_u32 v[1:2], null, s15, s20, v[1:2]
	v_mov_b32_e32 v12, v1
.LBB3_15:                               ;   Parent Loop BB3_4 Depth=1
                                        ; =>  This Inner Loop Header: Depth=2
	global_load_b128 v[24:27], v[11:12], off offset:-8
	global_load_b128 v[28:31], v[13:14], off offset:-8
	s_wait_alu 0xfffe
	s_addk_co_i32 s37, 0x400
	v_add_co_u32 v11, vcc_lo, v11, s28
	s_wait_alu 0xfffe
	v_add_nc_u32_e32 v4, s37, v0
	s_wait_alu 0xfffd
	v_add_co_ci_u32_e64 v12, null, s29, v12, vcc_lo
	s_delay_alu instid0(VALU_DEP_2) | instskip(SKIP_4) | instid1(VALU_DEP_2)
	v_cmp_le_i32_e32 vcc_lo, s22, v4
	s_or_b32 s36, vcc_lo, s36
	s_wait_loadcnt 0x1
	v_mul_f64_e32 v[1:2], v[9:10], v[26:27]
	v_mul_f64_e32 v[26:27], v[7:8], v[26:27]
	v_fma_f64 v[1:2], v[7:8], v[24:25], -v[1:2]
	s_delay_alu instid0(VALU_DEP_2) | instskip(SKIP_1) | instid1(VALU_DEP_2)
	v_fma_f64 v[26:27], v[9:10], v[24:25], v[26:27]
	s_wait_loadcnt 0x0
	v_add_f64_e32 v[24:25], v[28:29], v[1:2]
	s_delay_alu instid0(VALU_DEP_2)
	v_add_f64_e32 v[26:27], v[26:27], v[30:31]
	v_mov_b32_e32 v2, s37
	global_store_b128 v[13:14], v[24:27], off offset:-8
	v_add_co_u32 v13, s3, 0x4000, v13
	s_wait_alu 0xf1ff
	v_add_co_ci_u32_e64 v14, null, 0, v14, s3
	s_wait_alu 0xfffe
	s_and_not1_b32 exec_lo, exec_lo, s36
	s_cbranch_execnz .LBB3_15
; %bb.16:                               ;   in Loop: Header=BB3_4 Depth=1
	s_or_b32 exec_lo, exec_lo, s36
	v_mov_b32_e32 v1, v2
	v_mov_b32_e32 v2, v3
.LBB3_17:                               ;   in Loop: Header=BB3_4 Depth=1
	s_wait_alu 0xfffe
	s_or_b32 exec_lo, exec_lo, s23
	s_delay_alu instid0(SALU_CYCLE_1)
	s_mov_b32 s3, exec_lo
	v_cmpx_eq_u32_e64 s22, v4
	s_cbranch_execz .LBB3_2
; %bb.18:                               ;   in Loop: Header=BB3_4 Depth=1
	v_lshlrev_b64_e32 v[1:2], 4, v[1:2]
	v_mul_f64_e32 v[9:10], s[18:19], v[9:10]
	v_mov_b32_e32 v4, v3
	s_delay_alu instid0(VALU_DEP_3) | instskip(SKIP_1) | instid1(VALU_DEP_4)
	v_add_co_u32 v11, vcc_lo, v22, v1
	s_wait_alu 0xfffd
	v_add_co_ci_u32_e64 v12, null, v23, v2, vcc_lo
	global_load_b64 v[1:2], v[11:12], off
	v_fma_f64 v[7:8], s[16:17], v[7:8], -v[9:10]
	s_wait_loadcnt 0x0
	s_delay_alu instid0(VALU_DEP_1)
	v_add_f64_e32 v[1:2], v[7:8], v[1:2]
	global_store_b128 v[11:12], v[1:4], off
	s_branch .LBB3_2
.LBB3_19:
	s_endpgm
	.section	.rodata,"a",@progbits
	.p2align	6, 0x0
	.amdhsa_kernel _ZL18rocblas_her_kernelILi1024EdPK19rocblas_complex_numIdEPS1_EvbiT0_T1_lllT2_llli
		.amdhsa_group_segment_fixed_size 0
		.amdhsa_private_segment_fixed_size 0
		.amdhsa_kernarg_size 84
		.amdhsa_user_sgpr_count 2
		.amdhsa_user_sgpr_dispatch_ptr 0
		.amdhsa_user_sgpr_queue_ptr 0
		.amdhsa_user_sgpr_kernarg_segment_ptr 1
		.amdhsa_user_sgpr_dispatch_id 0
		.amdhsa_user_sgpr_private_segment_size 0
		.amdhsa_wavefront_size32 1
		.amdhsa_uses_dynamic_stack 0
		.amdhsa_enable_private_segment 0
		.amdhsa_system_sgpr_workgroup_id_x 1
		.amdhsa_system_sgpr_workgroup_id_y 0
		.amdhsa_system_sgpr_workgroup_id_z 1
		.amdhsa_system_sgpr_workgroup_info 0
		.amdhsa_system_vgpr_workitem_id 0
		.amdhsa_next_free_vgpr 32
		.amdhsa_next_free_sgpr 44
		.amdhsa_reserve_vcc 1
		.amdhsa_float_round_mode_32 0
		.amdhsa_float_round_mode_16_64 0
		.amdhsa_float_denorm_mode_32 3
		.amdhsa_float_denorm_mode_16_64 3
		.amdhsa_fp16_overflow 0
		.amdhsa_workgroup_processor_mode 1
		.amdhsa_memory_ordered 1
		.amdhsa_forward_progress 1
		.amdhsa_inst_pref_size 11
		.amdhsa_round_robin_scheduling 0
		.amdhsa_exception_fp_ieee_invalid_op 0
		.amdhsa_exception_fp_denorm_src 0
		.amdhsa_exception_fp_ieee_div_zero 0
		.amdhsa_exception_fp_ieee_overflow 0
		.amdhsa_exception_fp_ieee_underflow 0
		.amdhsa_exception_fp_ieee_inexact 0
		.amdhsa_exception_int_div_zero 0
	.end_amdhsa_kernel
	.section	.text._ZL18rocblas_her_kernelILi1024EdPK19rocblas_complex_numIdEPS1_EvbiT0_T1_lllT2_llli,"axG",@progbits,_ZL18rocblas_her_kernelILi1024EdPK19rocblas_complex_numIdEPS1_EvbiT0_T1_lllT2_llli,comdat
.Lfunc_end3:
	.size	_ZL18rocblas_her_kernelILi1024EdPK19rocblas_complex_numIdEPS1_EvbiT0_T1_lllT2_llli, .Lfunc_end3-_ZL18rocblas_her_kernelILi1024EdPK19rocblas_complex_numIdEPS1_EvbiT0_T1_lllT2_llli
                                        ; -- End function
	.set _ZL18rocblas_her_kernelILi1024EdPK19rocblas_complex_numIdEPS1_EvbiT0_T1_lllT2_llli.num_vgpr, 32
	.set _ZL18rocblas_her_kernelILi1024EdPK19rocblas_complex_numIdEPS1_EvbiT0_T1_lllT2_llli.num_agpr, 0
	.set _ZL18rocblas_her_kernelILi1024EdPK19rocblas_complex_numIdEPS1_EvbiT0_T1_lllT2_llli.numbered_sgpr, 44
	.set _ZL18rocblas_her_kernelILi1024EdPK19rocblas_complex_numIdEPS1_EvbiT0_T1_lllT2_llli.num_named_barrier, 0
	.set _ZL18rocblas_her_kernelILi1024EdPK19rocblas_complex_numIdEPS1_EvbiT0_T1_lllT2_llli.private_seg_size, 0
	.set _ZL18rocblas_her_kernelILi1024EdPK19rocblas_complex_numIdEPS1_EvbiT0_T1_lllT2_llli.uses_vcc, 1
	.set _ZL18rocblas_her_kernelILi1024EdPK19rocblas_complex_numIdEPS1_EvbiT0_T1_lllT2_llli.uses_flat_scratch, 0
	.set _ZL18rocblas_her_kernelILi1024EdPK19rocblas_complex_numIdEPS1_EvbiT0_T1_lllT2_llli.has_dyn_sized_stack, 0
	.set _ZL18rocblas_her_kernelILi1024EdPK19rocblas_complex_numIdEPS1_EvbiT0_T1_lllT2_llli.has_recursion, 0
	.set _ZL18rocblas_her_kernelILi1024EdPK19rocblas_complex_numIdEPS1_EvbiT0_T1_lllT2_llli.has_indirect_call, 0
	.section	.AMDGPU.csdata,"",@progbits
; Kernel info:
; codeLenInByte = 1304
; TotalNumSgprs: 46
; NumVgprs: 32
; ScratchSize: 0
; MemoryBound: 0
; FloatMode: 240
; IeeeMode: 1
; LDSByteSize: 0 bytes/workgroup (compile time only)
; SGPRBlocks: 0
; VGPRBlocks: 3
; NumSGPRsForWavesPerEU: 46
; NumVGPRsForWavesPerEU: 32
; Occupancy: 16
; WaveLimiterHint : 0
; COMPUTE_PGM_RSRC2:SCRATCH_EN: 0
; COMPUTE_PGM_RSRC2:USER_SGPR: 2
; COMPUTE_PGM_RSRC2:TRAP_HANDLER: 0
; COMPUTE_PGM_RSRC2:TGID_X_EN: 1
; COMPUTE_PGM_RSRC2:TGID_Y_EN: 0
; COMPUTE_PGM_RSRC2:TGID_Z_EN: 1
; COMPUTE_PGM_RSRC2:TIDIG_COMP_CNT: 0
	.section	.text._ZL18rocblas_her_kernelILi1024EPKfPKPK19rocblas_complex_numIfEPKPS3_EvbiT0_T1_lllT2_llli,"axG",@progbits,_ZL18rocblas_her_kernelILi1024EPKfPKPK19rocblas_complex_numIfEPKPS3_EvbiT0_T1_lllT2_llli,comdat
	.globl	_ZL18rocblas_her_kernelILi1024EPKfPKPK19rocblas_complex_numIfEPKPS3_EvbiT0_T1_lllT2_llli ; -- Begin function _ZL18rocblas_her_kernelILi1024EPKfPKPK19rocblas_complex_numIfEPKPS3_EvbiT0_T1_lllT2_llli
	.p2align	8
	.type	_ZL18rocblas_her_kernelILi1024EPKfPKPK19rocblas_complex_numIfEPKPS3_EvbiT0_T1_lllT2_llli,@function
_ZL18rocblas_her_kernelILi1024EPKfPKPK19rocblas_complex_numIfEPKPS3_EvbiT0_T1_lllT2_llli: ; @_ZL18rocblas_her_kernelILi1024EPKfPKPK19rocblas_complex_numIfEPKPS3_EvbiT0_T1_lllT2_llli
; %bb.0:
	s_load_b32 s30, s[0:1], 0x50
	s_lshr_b32 s16, ttmp7, 16
	s_wait_kmcnt 0x0
	s_cmp_ge_u32 s16, s30
	s_cbranch_scc1 .LBB4_19
; %bb.1:
	s_clause 0x3
	s_load_b64 s[20:21], s[0:1], 0x0
	s_load_b256 s[4:11], s[0:1], 0x8
	s_load_b64 s[2:3], s[0:1], 0x40
	s_load_b128 s[12:15], s[0:1], 0x30
	s_mov_b32 s18, ttmp9
	v_cmp_eq_u32_e64 s0, 0, v0
	v_cmp_gt_i32_e64 s1, ttmp9, v0
	s_mov_b32 s17, 0
	s_wait_kmcnt 0x0
	v_cmp_gt_i32_e32 vcc_lo, s21, v0
	v_mad_co_u64_u32 v[3:4], null, s10, v0, 0
	v_mov_b32_e32 v2, 0
	s_bitcmp1_b32 s20, 0
	v_cndmask_b32_e32 v6, 0, v0, vcc_lo
	s_cselect_b32 s20, -1, 0
	s_ashr_i32 s19, ttmp9, 31
	s_add_co_i32 s24, ttmp9, 1
	s_delay_alu instid0(VALU_DEP_3)
	v_mov_b32_e32 v1, v4
	s_lshl_b64 s[22:23], s[2:3], 3
	s_mul_u64 s[2:3], s[14:15], s[18:19]
	s_ashr_i32 s25, s24, 31
	s_lshl_b64 s[14:15], s[2:3], 3
	v_mad_co_u64_u32 v[4:5], null, s11, v0, v[1:2]
	v_lshlrev_b32_e32 v1, 3, v6
	v_add_nc_u32_e32 v11, s24, v0
	s_lshl_b64 s[24:25], s[24:25], 3
	s_add_nc_u64 s[28:29], s[14:15], s[22:23]
	s_lshl_b64 s[8:9], s[8:9], 3
	s_wait_alu 0xfffe
	s_add_nc_u64 s[24:25], s[28:29], s[24:25]
	v_lshlrev_b64_e32 v[3:4], 3, v[3:4]
	v_add_co_u32 v5, s3, s28, v1
	s_delay_alu instid0(VALU_DEP_1) | instskip(SKIP_2) | instid1(VALU_DEP_4)
	v_add_co_ci_u32_e64 v12, null, s29, 0, s3
	s_wait_alu 0xfffe
	v_add_co_u32 v1, s3, s24, v1
	v_add_co_u32 v3, vcc_lo, v3, s8
	v_cmp_gt_i32_e64 s2, s21, v11
	s_wait_alu 0xf1ff
	v_add_co_ci_u32_e64 v13, null, s25, 0, s3
	v_or_b32_e32 v14, 4, v5
	v_or_b32_e32 v15, 4, v1
	s_wait_alu 0xfffd
	v_add_co_ci_u32_e64 v16, null, s9, v4, vcc_lo
	v_or_b32_e32 v17, 4, v3
	v_lshlrev_b32_e32 v18, 3, v6
	s_mul_u64 s[26:27], s[10:11], s[18:19]
	s_xor_b32 s20, s20, -1
	s_lshl_b64 s[24:25], s[10:11], 13
	s_lshl_b64 s[26:27], s[26:27], 3
	;; [unrolled: 1-line block ×3, first 2 shown]
	s_branch .LBB4_4
.LBB4_2:                                ;   in Loop: Header=BB4_4 Depth=1
	s_wait_alu 0xfffe
	s_or_b32 exec_lo, exec_lo, s3
.LBB4_3:                                ;   in Loop: Header=BB4_4 Depth=1
	s_add_co_i32 s16, s16, 0x10000
	s_delay_alu instid0(SALU_CYCLE_1)
	s_cmp_lt_u32 s16, s30
	s_cbranch_scc0 .LBB4_19
.LBB4_4:                                ; =>This Loop Header: Depth=1
                                        ;     Child Loop BB4_10 Depth 2
                                        ;     Child Loop BB4_15 Depth 2
	global_load_b32 v1, v2, s[4:5]
	s_wait_loadcnt 0x0
	v_cmp_eq_f32_e32 vcc_lo, 0, v1
	s_cbranch_vccnz .LBB4_3
; %bb.5:                                ;   in Loop: Header=BB4_4 Depth=1
	s_lshl_b64 s[34:35], s[16:17], 3
	s_mov_b32 s3, -1
	s_add_nc_u64 s[36:37], s[6:7], s[34:35]
	s_add_nc_u64 s[34:35], s[12:13], s[34:35]
	s_clause 0x1
	global_load_b64 v[7:8], v2, s[36:37]
	global_load_b64 v[5:6], v2, s[34:35]
	s_wait_loadcnt 0x1
	v_add_co_u32 v23, vcc_lo, v7, s8
	s_wait_alu 0xfffd
	v_add_co_ci_u32_e64 v24, null, s9, v8, vcc_lo
	s_delay_alu instid0(VALU_DEP_2) | instskip(SKIP_1) | instid1(VALU_DEP_2)
	v_add_co_u32 v3, vcc_lo, v23, s26
	s_wait_alu 0xfffd
	v_add_co_ci_u32_e64 v4, null, s27, v24, vcc_lo
	s_wait_loadcnt 0x0
	v_add_co_u32 v19, vcc_lo, v5, s22
	s_wait_alu 0xfffd
	v_add_co_ci_u32_e64 v20, null, s23, v6, vcc_lo
	flat_load_b64 v[9:10], v[3:4]
	v_add_co_u32 v21, vcc_lo, v19, v18
	s_wait_alu 0xfffd
	v_add_co_ci_u32_e64 v20, null, 0, v20, vcc_lo
	s_delay_alu instid0(VALU_DEP_2) | instskip(SKIP_1) | instid1(VALU_DEP_2)
	v_add_co_u32 v21, vcc_lo, v21, s14
	s_wait_alu 0xfffd
	v_add_co_ci_u32_e64 v22, null, s15, v20, vcc_lo
	s_wait_alu 0xfffe
	s_and_b32 vcc_lo, exec_lo, s20
	s_wait_loadcnt_dscnt 0x0
	v_mul_f32_e32 v19, 0, v10
	v_mul_f32_e32 v10, v1, v10
	s_delay_alu instid0(VALU_DEP_2) | instskip(NEXT) | instid1(VALU_DEP_2)
	v_fmac_f32_e32 v19, v1, v9
	v_fma_f32 v20, v9, 0, -v10
	s_wait_alu 0xfffe
	s_cbranch_vccz .LBB4_12
; %bb.6:                                ;   in Loop: Header=BB4_4 Depth=1
	s_and_saveexec_b32 s3, s0
	s_cbranch_execz .LBB4_8
; %bb.7:                                ;   in Loop: Header=BB4_4 Depth=1
	flat_load_b64 v[9:10], v[3:4]
	v_add_co_u32 v25, vcc_lo, v21, s28
	s_wait_alu 0xfffd
	v_add_co_ci_u32_e64 v26, null, s29, v22, vcc_lo
	flat_load_b32 v1, v[25:26]
	s_wait_loadcnt_dscnt 0x101
	v_mul_f32_e32 v10, v20, v10
	s_delay_alu instid0(VALU_DEP_1) | instskip(SKIP_1) | instid1(VALU_DEP_1)
	v_fma_f32 v9, v19, v9, -v10
	s_wait_loadcnt_dscnt 0x0
	v_add_f32_e32 v1, v1, v9
	flat_store_b64 v[25:26], v[1:2]
.LBB4_8:                                ;   in Loop: Header=BB4_4 Depth=1
	s_wait_alu 0xfffe
	s_or_b32 exec_lo, exec_lo, s3
	s_and_saveexec_b32 s19, s2
	s_cbranch_execz .LBB4_11
; %bb.9:                                ;   in Loop: Header=BB4_4 Depth=1
	v_add_co_u32 v9, vcc_lo, v5, v15
	s_wait_alu 0xfffd
	v_add_co_ci_u32_e64 v10, null, v6, v13, vcc_lo
	v_mov_b32_e32 v1, v11
	s_mov_b32 s31, 0
.LBB4_10:                               ;   Parent Loop BB4_4 Depth=1
                                        ; =>  This Inner Loop Header: Depth=2
	s_delay_alu instid0(VALU_DEP_1) | instskip(SKIP_2) | instid1(VALU_DEP_3)
	v_ashrrev_i32_e32 v27, 31, v1
	v_mul_lo_u32 v28, s11, v1
	v_mad_co_u64_u32 v[25:26], null, s10, v1, 0
	v_mul_lo_u32 v27, s10, v27
	s_delay_alu instid0(VALU_DEP_1) | instskip(NEXT) | instid1(VALU_DEP_1)
	v_add3_u32 v26, v26, v27, v28
	v_lshlrev_b64_e32 v[25:26], 3, v[25:26]
	s_delay_alu instid0(VALU_DEP_1) | instskip(SKIP_1) | instid1(VALU_DEP_2)
	v_add_co_u32 v25, vcc_lo, v23, v25
	s_wait_alu 0xfffd
	v_add_co_ci_u32_e64 v26, null, v24, v26, vcc_lo
	flat_load_b64 v[25:26], v[25:26]
	flat_load_b64 v[27:28], v[9:10] offset:-4
	v_add_nc_u32_e32 v1, 0x400, v1
	s_wait_loadcnt_dscnt 0x101
	v_mul_f32_e32 v29, v20, v26
	v_mul_f32_e32 v26, v19, v26
	s_delay_alu instid0(VALU_DEP_3) | instskip(NEXT) | instid1(VALU_DEP_2)
	v_cmp_le_i32_e32 vcc_lo, s21, v1
	v_fmac_f32_e32 v26, v20, v25
	s_or_b32 s31, vcc_lo, s31
	s_wait_loadcnt_dscnt 0x0
	s_delay_alu instid0(VALU_DEP_1) | instskip(SKIP_1) | instid1(VALU_DEP_1)
	v_add_f32_e32 v26, v26, v28
	v_fma_f32 v29, v19, v25, -v29
	v_add_f32_e32 v25, v27, v29
	flat_store_b64 v[9:10], v[25:26] offset:-4
	v_add_co_u32 v9, s3, 0x2000, v9
	s_wait_alu 0xf1ff
	v_add_co_ci_u32_e64 v10, null, 0, v10, s3
	s_and_not1_b32 exec_lo, exec_lo, s31
	s_cbranch_execnz .LBB4_10
.LBB4_11:                               ;   in Loop: Header=BB4_4 Depth=1
	s_wait_alu 0xfffe
	s_or_b32 exec_lo, exec_lo, s19
	s_mov_b32 s3, 0
.LBB4_12:                               ;   in Loop: Header=BB4_4 Depth=1
	s_wait_alu 0xfffe
	s_and_b32 vcc_lo, exec_lo, s3
	s_wait_alu 0xfffe
	s_cbranch_vccz .LBB4_3
; %bb.13:                               ;   in Loop: Header=BB4_4 Depth=1
	v_mov_b32_e32 v9, 0
	v_dual_mov_b32 v10, 0 :: v_dual_mov_b32 v23, v0
	s_and_saveexec_b32 s19, s1
	s_cbranch_execz .LBB4_17
; %bb.14:                               ;   in Loop: Header=BB4_4 Depth=1
	v_add_co_u32 v7, vcc_lo, v7, v17
	s_wait_alu 0xfffd
	v_add_co_ci_u32_e64 v8, null, v8, v16, vcc_lo
	v_add_co_u32 v5, vcc_lo, v5, v14
	s_wait_alu 0xfffd
	v_add_co_ci_u32_e64 v6, null, v6, v12, vcc_lo
	s_mov_b32 s31, 0
	s_mov_b32 s33, 0
.LBB4_15:                               ;   Parent Loop BB4_4 Depth=1
                                        ; =>  This Inner Loop Header: Depth=2
	flat_load_b64 v[9:10], v[7:8] offset:-4
	flat_load_b64 v[24:25], v[5:6] offset:-4
	s_wait_alu 0xfffe
	s_addk_co_i32 s33, 0x400
	v_add_co_u32 v7, vcc_lo, v7, s24
	s_wait_alu 0xfffe
	v_add_nc_u32_e32 v23, s33, v0
	v_mov_b32_e32 v1, s33
	s_wait_alu 0xfffd
	v_add_co_ci_u32_e64 v8, null, s25, v8, vcc_lo
	s_wait_loadcnt_dscnt 0x101
	v_mul_f32_e32 v26, v20, v10
	v_mul_f32_e32 v10, v19, v10
	v_cmp_le_i32_e32 vcc_lo, s18, v23
	s_delay_alu instid0(VALU_DEP_3) | instskip(NEXT) | instid1(VALU_DEP_3)
	v_fma_f32 v26, v19, v9, -v26
	v_fmac_f32_e32 v10, v20, v9
	s_or_b32 s31, vcc_lo, s31
	s_wait_loadcnt_dscnt 0x0
	s_delay_alu instid0(VALU_DEP_1)
	v_dual_add_f32 v9, v24, v26 :: v_dual_add_f32 v10, v10, v25
	flat_store_b64 v[5:6], v[9:10] offset:-4
	v_add_co_u32 v5, s3, 0x2000, v5
	s_wait_alu 0xf1ff
	v_add_co_ci_u32_e64 v6, null, 0, v6, s3
	s_and_not1_b32 exec_lo, exec_lo, s31
	s_cbranch_execnz .LBB4_15
; %bb.16:                               ;   in Loop: Header=BB4_4 Depth=1
	s_or_b32 exec_lo, exec_lo, s31
	v_dual_mov_b32 v10, v2 :: v_dual_mov_b32 v9, v1
.LBB4_17:                               ;   in Loop: Header=BB4_4 Depth=1
	s_wait_alu 0xfffe
	s_or_b32 exec_lo, exec_lo, s19
	s_delay_alu instid0(SALU_CYCLE_1)
	s_mov_b32 s3, exec_lo
	v_cmpx_eq_u32_e64 s18, v23
	s_cbranch_execz .LBB4_2
; %bb.18:                               ;   in Loop: Header=BB4_4 Depth=1
	v_lshlrev_b64_e32 v[5:6], 3, v[9:10]
	flat_load_b64 v[3:4], v[3:4]
	v_add_co_u32 v5, vcc_lo, v21, v5
	s_wait_alu 0xfffd
	v_add_co_ci_u32_e64 v6, null, v22, v6, vcc_lo
	flat_load_b32 v1, v[5:6]
	s_wait_loadcnt_dscnt 0x101
	v_mul_f32_e32 v4, v20, v4
	s_delay_alu instid0(VALU_DEP_1) | instskip(SKIP_1) | instid1(VALU_DEP_1)
	v_fma_f32 v3, v19, v3, -v4
	s_wait_loadcnt_dscnt 0x0
	v_add_f32_e32 v1, v1, v3
	flat_store_b64 v[5:6], v[1:2]
	s_branch .LBB4_2
.LBB4_19:
	s_endpgm
	.section	.rodata,"a",@progbits
	.p2align	6, 0x0
	.amdhsa_kernel _ZL18rocblas_her_kernelILi1024EPKfPKPK19rocblas_complex_numIfEPKPS3_EvbiT0_T1_lllT2_llli
		.amdhsa_group_segment_fixed_size 0
		.amdhsa_private_segment_fixed_size 0
		.amdhsa_kernarg_size 84
		.amdhsa_user_sgpr_count 2
		.amdhsa_user_sgpr_dispatch_ptr 0
		.amdhsa_user_sgpr_queue_ptr 0
		.amdhsa_user_sgpr_kernarg_segment_ptr 1
		.amdhsa_user_sgpr_dispatch_id 0
		.amdhsa_user_sgpr_private_segment_size 0
		.amdhsa_wavefront_size32 1
		.amdhsa_uses_dynamic_stack 0
		.amdhsa_enable_private_segment 0
		.amdhsa_system_sgpr_workgroup_id_x 1
		.amdhsa_system_sgpr_workgroup_id_y 0
		.amdhsa_system_sgpr_workgroup_id_z 1
		.amdhsa_system_sgpr_workgroup_info 0
		.amdhsa_system_vgpr_workitem_id 0
		.amdhsa_next_free_vgpr 30
		.amdhsa_next_free_sgpr 38
		.amdhsa_reserve_vcc 1
		.amdhsa_float_round_mode_32 0
		.amdhsa_float_round_mode_16_64 0
		.amdhsa_float_denorm_mode_32 3
		.amdhsa_float_denorm_mode_16_64 3
		.amdhsa_fp16_overflow 0
		.amdhsa_workgroup_processor_mode 1
		.amdhsa_memory_ordered 1
		.amdhsa_forward_progress 1
		.amdhsa_inst_pref_size 11
		.amdhsa_round_robin_scheduling 0
		.amdhsa_exception_fp_ieee_invalid_op 0
		.amdhsa_exception_fp_denorm_src 0
		.amdhsa_exception_fp_ieee_div_zero 0
		.amdhsa_exception_fp_ieee_overflow 0
		.amdhsa_exception_fp_ieee_underflow 0
		.amdhsa_exception_fp_ieee_inexact 0
		.amdhsa_exception_int_div_zero 0
	.end_amdhsa_kernel
	.section	.text._ZL18rocblas_her_kernelILi1024EPKfPKPK19rocblas_complex_numIfEPKPS3_EvbiT0_T1_lllT2_llli,"axG",@progbits,_ZL18rocblas_her_kernelILi1024EPKfPKPK19rocblas_complex_numIfEPKPS3_EvbiT0_T1_lllT2_llli,comdat
.Lfunc_end4:
	.size	_ZL18rocblas_her_kernelILi1024EPKfPKPK19rocblas_complex_numIfEPKPS3_EvbiT0_T1_lllT2_llli, .Lfunc_end4-_ZL18rocblas_her_kernelILi1024EPKfPKPK19rocblas_complex_numIfEPKPS3_EvbiT0_T1_lllT2_llli
                                        ; -- End function
	.set _ZL18rocblas_her_kernelILi1024EPKfPKPK19rocblas_complex_numIfEPKPS3_EvbiT0_T1_lllT2_llli.num_vgpr, 30
	.set _ZL18rocblas_her_kernelILi1024EPKfPKPK19rocblas_complex_numIfEPKPS3_EvbiT0_T1_lllT2_llli.num_agpr, 0
	.set _ZL18rocblas_her_kernelILi1024EPKfPKPK19rocblas_complex_numIfEPKPS3_EvbiT0_T1_lllT2_llli.numbered_sgpr, 38
	.set _ZL18rocblas_her_kernelILi1024EPKfPKPK19rocblas_complex_numIfEPKPS3_EvbiT0_T1_lllT2_llli.num_named_barrier, 0
	.set _ZL18rocblas_her_kernelILi1024EPKfPKPK19rocblas_complex_numIfEPKPS3_EvbiT0_T1_lllT2_llli.private_seg_size, 0
	.set _ZL18rocblas_her_kernelILi1024EPKfPKPK19rocblas_complex_numIfEPKPS3_EvbiT0_T1_lllT2_llli.uses_vcc, 1
	.set _ZL18rocblas_her_kernelILi1024EPKfPKPK19rocblas_complex_numIfEPKPS3_EvbiT0_T1_lllT2_llli.uses_flat_scratch, 0
	.set _ZL18rocblas_her_kernelILi1024EPKfPKPK19rocblas_complex_numIfEPKPS3_EvbiT0_T1_lllT2_llli.has_dyn_sized_stack, 0
	.set _ZL18rocblas_her_kernelILi1024EPKfPKPK19rocblas_complex_numIfEPKPS3_EvbiT0_T1_lllT2_llli.has_recursion, 0
	.set _ZL18rocblas_her_kernelILi1024EPKfPKPK19rocblas_complex_numIfEPKPS3_EvbiT0_T1_lllT2_llli.has_indirect_call, 0
	.section	.AMDGPU.csdata,"",@progbits
; Kernel info:
; codeLenInByte = 1296
; TotalNumSgprs: 40
; NumVgprs: 30
; ScratchSize: 0
; MemoryBound: 0
; FloatMode: 240
; IeeeMode: 1
; LDSByteSize: 0 bytes/workgroup (compile time only)
; SGPRBlocks: 0
; VGPRBlocks: 3
; NumSGPRsForWavesPerEU: 40
; NumVGPRsForWavesPerEU: 30
; Occupancy: 16
; WaveLimiterHint : 1
; COMPUTE_PGM_RSRC2:SCRATCH_EN: 0
; COMPUTE_PGM_RSRC2:USER_SGPR: 2
; COMPUTE_PGM_RSRC2:TRAP_HANDLER: 0
; COMPUTE_PGM_RSRC2:TGID_X_EN: 1
; COMPUTE_PGM_RSRC2:TGID_Y_EN: 0
; COMPUTE_PGM_RSRC2:TGID_Z_EN: 1
; COMPUTE_PGM_RSRC2:TIDIG_COMP_CNT: 0
	.section	.text._ZL18rocblas_her_kernelILi1024EfPKPK19rocblas_complex_numIfEPKPS1_EvbiT0_T1_lllT2_llli,"axG",@progbits,_ZL18rocblas_her_kernelILi1024EfPKPK19rocblas_complex_numIfEPKPS1_EvbiT0_T1_lllT2_llli,comdat
	.globl	_ZL18rocblas_her_kernelILi1024EfPKPK19rocblas_complex_numIfEPKPS1_EvbiT0_T1_lllT2_llli ; -- Begin function _ZL18rocblas_her_kernelILi1024EfPKPK19rocblas_complex_numIfEPKPS1_EvbiT0_T1_lllT2_llli
	.p2align	8
	.type	_ZL18rocblas_her_kernelILi1024EfPKPK19rocblas_complex_numIfEPKPS1_EvbiT0_T1_lllT2_llli,@function
_ZL18rocblas_her_kernelILi1024EfPKPK19rocblas_complex_numIfEPKPS1_EvbiT0_T1_lllT2_llli: ; @_ZL18rocblas_her_kernelILi1024EfPKPK19rocblas_complex_numIfEPKPS1_EvbiT0_T1_lllT2_llli
; %bb.0:
	s_load_b32 s15, s[0:1], 0x50
	s_lshr_b32 s16, ttmp7, 16
	s_wait_kmcnt 0x0
	s_cmp_ge_u32 s16, s15
	s_cbranch_scc1 .LBB5_19
; %bb.1:
	s_clause 0x4
	s_load_b96 s[12:14], s[0:1], 0x0
	s_load_b64 s[20:21], s[0:1], 0x20
	s_load_b64 s[2:3], s[0:1], 0x40
	s_load_b128 s[4:7], s[0:1], 0x10
	s_load_b128 s[8:11], s[0:1], 0x30
	s_mov_b32 s18, ttmp9
	v_cmp_eq_u32_e64 s0, 0, v0
	s_mov_b32 s17, 0
	s_wait_kmcnt 0x0
	v_cmp_gt_i32_e32 vcc_lo, s13, v0
	v_mad_co_u64_u32 v[3:4], null, s20, v0, 0
	s_bitcmp1_b32 s12, 0
	s_cselect_b32 s1, -1, 0
	v_cndmask_b32_e32 v6, 0, v0, vcc_lo
	s_xor_b32 s12, s1, -1
	s_cmp_neq_f32 s14, 0
	v_dual_mov_b32 v1, v4 :: v_dual_mov_b32 v2, 0
	s_delay_alu instid0(VALU_DEP_2)
	v_lshlrev_b32_e32 v7, 3, v6
	s_cselect_b32 s30, -1, 0
	s_ashr_i32 s19, ttmp9, 31
	s_add_co_i32 s24, ttmp9, 1
	v_mad_co_u64_u32 v[4:5], null, s21, v0, v[1:2]
	s_lshl_b64 s[22:23], s[2:3], 3
	s_mul_u64 s[2:3], s[10:11], s[18:19]
	s_ashr_i32 s25, s24, 31
	s_lshl_b64 s[10:11], s[2:3], 3
	v_add_nc_u32_e32 v11, s24, v0
	s_lshl_b64 s[24:25], s[24:25], 3
	v_lshlrev_b64_e32 v[3:4], 3, v[3:4]
	s_add_nc_u64 s[28:29], s[10:11], s[22:23]
	s_lshl_b64 s[6:7], s[6:7], 3
	s_wait_alu 0xfffe
	s_add_nc_u64 s[24:25], s[28:29], s[24:25]
	v_add_co_u32 v1, s3, s28, v7
	s_delay_alu instid0(VALU_DEP_1)
	v_add_co_ci_u32_e64 v12, null, s29, 0, s3
	s_wait_alu 0xfffe
	v_add_co_u32 v5, s3, s24, v7
	v_add_co_u32 v3, vcc_lo, v3, s6
	v_cmp_gt_i32_e64 s1, ttmp9, v0
	v_cmp_gt_i32_e64 s2, s13, v11
	s_wait_alu 0xf1ff
	v_add_co_ci_u32_e64 v13, null, s25, 0, s3
	v_or_b32_e32 v14, 4, v1
	v_or_b32_e32 v15, 4, v5
	s_wait_alu 0xfffd
	v_add_co_ci_u32_e64 v16, null, s7, v4, vcc_lo
	v_or_b32_e32 v17, 4, v3
	v_lshlrev_b32_e32 v18, 3, v6
	s_mul_u64 s[26:27], s[20:21], s[18:19]
	s_lshl_b64 s[24:25], s[20:21], 13
	s_lshl_b64 s[26:27], s[26:27], 3
	;; [unrolled: 1-line block ×3, first 2 shown]
	s_branch .LBB5_4
.LBB5_2:                                ;   in Loop: Header=BB5_4 Depth=1
	s_wait_alu 0xfffe
	s_or_b32 exec_lo, exec_lo, s3
.LBB5_3:                                ;   in Loop: Header=BB5_4 Depth=1
	s_add_co_i32 s16, s16, 0x10000
	s_delay_alu instid0(SALU_CYCLE_1)
	s_cmp_lt_u32 s16, s15
	s_cbranch_scc0 .LBB5_19
.LBB5_4:                                ; =>This Loop Header: Depth=1
                                        ;     Child Loop BB5_10 Depth 2
                                        ;     Child Loop BB5_15 Depth 2
	s_and_not1_b32 vcc_lo, exec_lo, s30
	s_wait_alu 0xfffe
	s_cbranch_vccnz .LBB5_3
; %bb.5:                                ;   in Loop: Header=BB5_4 Depth=1
	s_lshl_b64 s[34:35], s[16:17], 3
	s_mov_b32 s3, -1
	s_add_nc_u64 s[36:37], s[4:5], s[34:35]
	s_add_nc_u64 s[34:35], s[8:9], s[34:35]
	s_clause 0x1
	global_load_b64 v[7:8], v2, s[36:37]
	global_load_b64 v[5:6], v2, s[34:35]
	s_wait_loadcnt 0x1
	v_add_co_u32 v23, vcc_lo, v7, s6
	s_wait_alu 0xfffd
	v_add_co_ci_u32_e64 v24, null, s7, v8, vcc_lo
	s_delay_alu instid0(VALU_DEP_2) | instskip(SKIP_1) | instid1(VALU_DEP_2)
	v_add_co_u32 v3, vcc_lo, v23, s26
	s_wait_alu 0xfffd
	v_add_co_ci_u32_e64 v4, null, s27, v24, vcc_lo
	s_wait_loadcnt 0x0
	v_add_co_u32 v1, vcc_lo, v5, s22
	s_wait_alu 0xfffd
	v_add_co_ci_u32_e64 v19, null, s23, v6, vcc_lo
	flat_load_b64 v[9:10], v[3:4]
	v_add_co_u32 v1, vcc_lo, v1, v18
	s_wait_alu 0xfffd
	v_add_co_ci_u32_e64 v20, null, 0, v19, vcc_lo
	s_delay_alu instid0(VALU_DEP_2) | instskip(SKIP_1) | instid1(VALU_DEP_2)
	v_add_co_u32 v21, vcc_lo, v1, s10
	s_wait_alu 0xfffd
	v_add_co_ci_u32_e64 v22, null, s11, v20, vcc_lo
	s_and_b32 vcc_lo, exec_lo, s12
	s_wait_loadcnt_dscnt 0x0
	v_mul_f32_e32 v19, 0, v10
	s_delay_alu instid0(VALU_DEP_1) | instskip(NEXT) | instid1(VALU_DEP_1)
	v_dual_mul_f32 v10, s14, v10 :: v_dual_fmac_f32 v19, s14, v9
	v_fma_f32 v20, v9, 0, -v10
	s_wait_alu 0xfffe
	s_cbranch_vccz .LBB5_12
; %bb.6:                                ;   in Loop: Header=BB5_4 Depth=1
	s_and_saveexec_b32 s3, s0
	s_cbranch_execz .LBB5_8
; %bb.7:                                ;   in Loop: Header=BB5_4 Depth=1
	flat_load_b64 v[9:10], v[3:4]
	v_add_co_u32 v25, vcc_lo, v21, s28
	s_wait_alu 0xfffd
	v_add_co_ci_u32_e64 v26, null, s29, v22, vcc_lo
	flat_load_b32 v1, v[25:26]
	s_wait_loadcnt_dscnt 0x101
	v_mul_f32_e32 v10, v20, v10
	s_delay_alu instid0(VALU_DEP_1) | instskip(SKIP_1) | instid1(VALU_DEP_1)
	v_fma_f32 v9, v19, v9, -v10
	s_wait_loadcnt_dscnt 0x0
	v_add_f32_e32 v1, v1, v9
	flat_store_b64 v[25:26], v[1:2]
.LBB5_8:                                ;   in Loop: Header=BB5_4 Depth=1
	s_wait_alu 0xfffe
	s_or_b32 exec_lo, exec_lo, s3
	s_and_saveexec_b32 s19, s2
	s_cbranch_execz .LBB5_11
; %bb.9:                                ;   in Loop: Header=BB5_4 Depth=1
	v_add_co_u32 v9, vcc_lo, v5, v15
	s_wait_alu 0xfffd
	v_add_co_ci_u32_e64 v10, null, v6, v13, vcc_lo
	v_mov_b32_e32 v1, v11
	s_mov_b32 s31, 0
.LBB5_10:                               ;   Parent Loop BB5_4 Depth=1
                                        ; =>  This Inner Loop Header: Depth=2
	s_delay_alu instid0(VALU_DEP_1) | instskip(SKIP_2) | instid1(VALU_DEP_3)
	v_ashrrev_i32_e32 v27, 31, v1
	v_mul_lo_u32 v28, s21, v1
	v_mad_co_u64_u32 v[25:26], null, s20, v1, 0
	v_mul_lo_u32 v27, s20, v27
	s_delay_alu instid0(VALU_DEP_1) | instskip(NEXT) | instid1(VALU_DEP_1)
	v_add3_u32 v26, v26, v27, v28
	v_lshlrev_b64_e32 v[25:26], 3, v[25:26]
	s_delay_alu instid0(VALU_DEP_1) | instskip(SKIP_1) | instid1(VALU_DEP_2)
	v_add_co_u32 v25, vcc_lo, v23, v25
	s_wait_alu 0xfffd
	v_add_co_ci_u32_e64 v26, null, v24, v26, vcc_lo
	flat_load_b64 v[25:26], v[25:26]
	flat_load_b64 v[27:28], v[9:10] offset:-4
	v_add_nc_u32_e32 v1, 0x400, v1
	s_wait_loadcnt_dscnt 0x101
	v_mul_f32_e32 v29, v20, v26
	v_mul_f32_e32 v26, v19, v26
	s_delay_alu instid0(VALU_DEP_3) | instskip(NEXT) | instid1(VALU_DEP_2)
	v_cmp_le_i32_e32 vcc_lo, s13, v1
	v_fmac_f32_e32 v26, v20, v25
	s_or_b32 s31, vcc_lo, s31
	s_wait_loadcnt_dscnt 0x0
	s_delay_alu instid0(VALU_DEP_1) | instskip(SKIP_1) | instid1(VALU_DEP_1)
	v_add_f32_e32 v26, v26, v28
	v_fma_f32 v29, v19, v25, -v29
	v_add_f32_e32 v25, v27, v29
	flat_store_b64 v[9:10], v[25:26] offset:-4
	v_add_co_u32 v9, s3, 0x2000, v9
	s_wait_alu 0xf1ff
	v_add_co_ci_u32_e64 v10, null, 0, v10, s3
	s_and_not1_b32 exec_lo, exec_lo, s31
	s_cbranch_execnz .LBB5_10
.LBB5_11:                               ;   in Loop: Header=BB5_4 Depth=1
	s_wait_alu 0xfffe
	s_or_b32 exec_lo, exec_lo, s19
	s_mov_b32 s3, 0
.LBB5_12:                               ;   in Loop: Header=BB5_4 Depth=1
	s_wait_alu 0xfffe
	s_and_b32 vcc_lo, exec_lo, s3
	s_wait_alu 0xfffe
	s_cbranch_vccz .LBB5_3
; %bb.13:                               ;   in Loop: Header=BB5_4 Depth=1
	v_mov_b32_e32 v9, 0
	v_dual_mov_b32 v10, 0 :: v_dual_mov_b32 v23, v0
	s_and_saveexec_b32 s19, s1
	s_cbranch_execz .LBB5_17
; %bb.14:                               ;   in Loop: Header=BB5_4 Depth=1
	v_add_co_u32 v7, vcc_lo, v7, v17
	s_wait_alu 0xfffd
	v_add_co_ci_u32_e64 v8, null, v8, v16, vcc_lo
	v_add_co_u32 v5, vcc_lo, v5, v14
	s_wait_alu 0xfffd
	v_add_co_ci_u32_e64 v6, null, v6, v12, vcc_lo
	s_mov_b32 s31, 0
	s_mov_b32 s33, 0
.LBB5_15:                               ;   Parent Loop BB5_4 Depth=1
                                        ; =>  This Inner Loop Header: Depth=2
	flat_load_b64 v[9:10], v[7:8] offset:-4
	flat_load_b64 v[24:25], v[5:6] offset:-4
	s_wait_alu 0xfffe
	s_addk_co_i32 s33, 0x400
	v_add_co_u32 v7, vcc_lo, v7, s24
	s_wait_alu 0xfffe
	v_add_nc_u32_e32 v23, s33, v0
	v_mov_b32_e32 v1, s33
	s_wait_alu 0xfffd
	v_add_co_ci_u32_e64 v8, null, s25, v8, vcc_lo
	s_wait_loadcnt_dscnt 0x101
	v_mul_f32_e32 v26, v20, v10
	v_mul_f32_e32 v10, v19, v10
	v_cmp_le_i32_e32 vcc_lo, s18, v23
	s_delay_alu instid0(VALU_DEP_3) | instskip(NEXT) | instid1(VALU_DEP_3)
	v_fma_f32 v26, v19, v9, -v26
	v_fmac_f32_e32 v10, v20, v9
	s_or_b32 s31, vcc_lo, s31
	s_wait_loadcnt_dscnt 0x0
	s_delay_alu instid0(VALU_DEP_1)
	v_dual_add_f32 v9, v24, v26 :: v_dual_add_f32 v10, v10, v25
	flat_store_b64 v[5:6], v[9:10] offset:-4
	v_add_co_u32 v5, s3, 0x2000, v5
	s_wait_alu 0xf1ff
	v_add_co_ci_u32_e64 v6, null, 0, v6, s3
	s_and_not1_b32 exec_lo, exec_lo, s31
	s_cbranch_execnz .LBB5_15
; %bb.16:                               ;   in Loop: Header=BB5_4 Depth=1
	s_or_b32 exec_lo, exec_lo, s31
	v_dual_mov_b32 v10, v2 :: v_dual_mov_b32 v9, v1
.LBB5_17:                               ;   in Loop: Header=BB5_4 Depth=1
	s_wait_alu 0xfffe
	s_or_b32 exec_lo, exec_lo, s19
	s_delay_alu instid0(SALU_CYCLE_1)
	s_mov_b32 s3, exec_lo
	v_cmpx_eq_u32_e64 s18, v23
	s_cbranch_execz .LBB5_2
; %bb.18:                               ;   in Loop: Header=BB5_4 Depth=1
	v_lshlrev_b64_e32 v[5:6], 3, v[9:10]
	flat_load_b64 v[3:4], v[3:4]
	v_add_co_u32 v5, vcc_lo, v21, v5
	s_wait_alu 0xfffd
	v_add_co_ci_u32_e64 v6, null, v22, v6, vcc_lo
	flat_load_b32 v1, v[5:6]
	s_wait_loadcnt_dscnt 0x101
	v_mul_f32_e32 v4, v20, v4
	s_delay_alu instid0(VALU_DEP_1) | instskip(SKIP_1) | instid1(VALU_DEP_1)
	v_fma_f32 v3, v19, v3, -v4
	s_wait_loadcnt_dscnt 0x0
	v_add_f32_e32 v1, v1, v3
	flat_store_b64 v[5:6], v[1:2]
	s_branch .LBB5_2
.LBB5_19:
	s_endpgm
	.section	.rodata,"a",@progbits
	.p2align	6, 0x0
	.amdhsa_kernel _ZL18rocblas_her_kernelILi1024EfPKPK19rocblas_complex_numIfEPKPS1_EvbiT0_T1_lllT2_llli
		.amdhsa_group_segment_fixed_size 0
		.amdhsa_private_segment_fixed_size 0
		.amdhsa_kernarg_size 84
		.amdhsa_user_sgpr_count 2
		.amdhsa_user_sgpr_dispatch_ptr 0
		.amdhsa_user_sgpr_queue_ptr 0
		.amdhsa_user_sgpr_kernarg_segment_ptr 1
		.amdhsa_user_sgpr_dispatch_id 0
		.amdhsa_user_sgpr_private_segment_size 0
		.amdhsa_wavefront_size32 1
		.amdhsa_uses_dynamic_stack 0
		.amdhsa_enable_private_segment 0
		.amdhsa_system_sgpr_workgroup_id_x 1
		.amdhsa_system_sgpr_workgroup_id_y 0
		.amdhsa_system_sgpr_workgroup_id_z 1
		.amdhsa_system_sgpr_workgroup_info 0
		.amdhsa_system_vgpr_workitem_id 0
		.amdhsa_next_free_vgpr 30
		.amdhsa_next_free_sgpr 38
		.amdhsa_reserve_vcc 1
		.amdhsa_float_round_mode_32 0
		.amdhsa_float_round_mode_16_64 0
		.amdhsa_float_denorm_mode_32 3
		.amdhsa_float_denorm_mode_16_64 3
		.amdhsa_fp16_overflow 0
		.amdhsa_workgroup_processor_mode 1
		.amdhsa_memory_ordered 1
		.amdhsa_forward_progress 1
		.amdhsa_inst_pref_size 11
		.amdhsa_round_robin_scheduling 0
		.amdhsa_exception_fp_ieee_invalid_op 0
		.amdhsa_exception_fp_denorm_src 0
		.amdhsa_exception_fp_ieee_div_zero 0
		.amdhsa_exception_fp_ieee_overflow 0
		.amdhsa_exception_fp_ieee_underflow 0
		.amdhsa_exception_fp_ieee_inexact 0
		.amdhsa_exception_int_div_zero 0
	.end_amdhsa_kernel
	.section	.text._ZL18rocblas_her_kernelILi1024EfPKPK19rocblas_complex_numIfEPKPS1_EvbiT0_T1_lllT2_llli,"axG",@progbits,_ZL18rocblas_her_kernelILi1024EfPKPK19rocblas_complex_numIfEPKPS1_EvbiT0_T1_lllT2_llli,comdat
.Lfunc_end5:
	.size	_ZL18rocblas_her_kernelILi1024EfPKPK19rocblas_complex_numIfEPKPS1_EvbiT0_T1_lllT2_llli, .Lfunc_end5-_ZL18rocblas_her_kernelILi1024EfPKPK19rocblas_complex_numIfEPKPS1_EvbiT0_T1_lllT2_llli
                                        ; -- End function
	.set _ZL18rocblas_her_kernelILi1024EfPKPK19rocblas_complex_numIfEPKPS1_EvbiT0_T1_lllT2_llli.num_vgpr, 30
	.set _ZL18rocblas_her_kernelILi1024EfPKPK19rocblas_complex_numIfEPKPS1_EvbiT0_T1_lllT2_llli.num_agpr, 0
	.set _ZL18rocblas_her_kernelILi1024EfPKPK19rocblas_complex_numIfEPKPS1_EvbiT0_T1_lllT2_llli.numbered_sgpr, 38
	.set _ZL18rocblas_her_kernelILi1024EfPKPK19rocblas_complex_numIfEPKPS1_EvbiT0_T1_lllT2_llli.num_named_barrier, 0
	.set _ZL18rocblas_her_kernelILi1024EfPKPK19rocblas_complex_numIfEPKPS1_EvbiT0_T1_lllT2_llli.private_seg_size, 0
	.set _ZL18rocblas_her_kernelILi1024EfPKPK19rocblas_complex_numIfEPKPS1_EvbiT0_T1_lllT2_llli.uses_vcc, 1
	.set _ZL18rocblas_her_kernelILi1024EfPKPK19rocblas_complex_numIfEPKPS1_EvbiT0_T1_lllT2_llli.uses_flat_scratch, 0
	.set _ZL18rocblas_her_kernelILi1024EfPKPK19rocblas_complex_numIfEPKPS1_EvbiT0_T1_lllT2_llli.has_dyn_sized_stack, 0
	.set _ZL18rocblas_her_kernelILi1024EfPKPK19rocblas_complex_numIfEPKPS1_EvbiT0_T1_lllT2_llli.has_recursion, 0
	.set _ZL18rocblas_her_kernelILi1024EfPKPK19rocblas_complex_numIfEPKPS1_EvbiT0_T1_lllT2_llli.has_indirect_call, 0
	.section	.AMDGPU.csdata,"",@progbits
; Kernel info:
; codeLenInByte = 1296
; TotalNumSgprs: 40
; NumVgprs: 30
; ScratchSize: 0
; MemoryBound: 0
; FloatMode: 240
; IeeeMode: 1
; LDSByteSize: 0 bytes/workgroup (compile time only)
; SGPRBlocks: 0
; VGPRBlocks: 3
; NumSGPRsForWavesPerEU: 40
; NumVGPRsForWavesPerEU: 30
; Occupancy: 16
; WaveLimiterHint : 1
; COMPUTE_PGM_RSRC2:SCRATCH_EN: 0
; COMPUTE_PGM_RSRC2:USER_SGPR: 2
; COMPUTE_PGM_RSRC2:TRAP_HANDLER: 0
; COMPUTE_PGM_RSRC2:TGID_X_EN: 1
; COMPUTE_PGM_RSRC2:TGID_Y_EN: 0
; COMPUTE_PGM_RSRC2:TGID_Z_EN: 1
; COMPUTE_PGM_RSRC2:TIDIG_COMP_CNT: 0
	.section	.text._ZL18rocblas_her_kernelILi1024EPKdPKPK19rocblas_complex_numIdEPKPS3_EvbiT0_T1_lllT2_llli,"axG",@progbits,_ZL18rocblas_her_kernelILi1024EPKdPKPK19rocblas_complex_numIdEPKPS3_EvbiT0_T1_lllT2_llli,comdat
	.globl	_ZL18rocblas_her_kernelILi1024EPKdPKPK19rocblas_complex_numIdEPKPS3_EvbiT0_T1_lllT2_llli ; -- Begin function _ZL18rocblas_her_kernelILi1024EPKdPKPK19rocblas_complex_numIdEPKPS3_EvbiT0_T1_lllT2_llli
	.p2align	8
	.type	_ZL18rocblas_her_kernelILi1024EPKdPKPK19rocblas_complex_numIdEPKPS3_EvbiT0_T1_lllT2_llli,@function
_ZL18rocblas_her_kernelILi1024EPKdPKPK19rocblas_complex_numIdEPKPS3_EvbiT0_T1_lllT2_llli: ; @_ZL18rocblas_her_kernelILi1024EPKdPKPK19rocblas_complex_numIdEPKPS3_EvbiT0_T1_lllT2_llli
; %bb.0:
	s_load_b32 s33, s[0:1], 0x50
	s_lshr_b32 s16, ttmp7, 16
	s_wait_kmcnt 0x0
	s_cmp_ge_u32 s16, s33
	s_cbranch_scc1 .LBB6_19
; %bb.1:
	s_clause 0x3
	s_load_b64 s[20:21], s[0:1], 0x0
	s_load_b256 s[4:11], s[0:1], 0x8
	s_load_b64 s[2:3], s[0:1], 0x40
	s_load_b128 s[12:15], s[0:1], 0x30
	s_mov_b32 s18, ttmp9
	v_cmp_eq_u32_e64 s0, 0, v0
	v_cmp_gt_i32_e64 s1, ttmp9, v0
	s_mov_b32 s17, 0
	s_wait_kmcnt 0x0
	v_cmp_gt_i32_e32 vcc_lo, s21, v0
	v_mad_co_u64_u32 v[1:2], null, s10, v0, 0
	v_mov_b32_e32 v3, 0
	s_bitcmp1_b32 s20, 0
	v_cndmask_b32_e32 v6, 0, v0, vcc_lo
	s_cselect_b32 s20, -1, 0
	s_add_co_i32 s24, ttmp9, 1
	s_ashr_i32 s19, ttmp9, 31
	s_delay_alu instid0(VALU_DEP_3)
	v_mad_co_u64_u32 v[4:5], null, s11, v0, v[2:3]
	v_add_nc_u32_e32 v17, s24, v0
	s_lshl_b64 s[22:23], s[2:3], 4
	s_mul_u64 s[2:3], s[14:15], s[18:19]
	v_lshlrev_b32_e32 v5, 4, v6
	s_ashr_i32 s25, s24, 31
	s_lshl_b64 s[14:15], s[2:3], 4
	s_delay_alu instid0(VALU_DEP_3)
	v_mov_b32_e32 v2, v4
	s_wait_alu 0xfffe
	s_lshl_b64 s[24:25], s[24:25], 4
	s_add_nc_u64 s[28:29], s[14:15], s[22:23]
	s_lshl_b64 s[8:9], s[8:9], 4
	s_wait_alu 0xfffe
	s_add_nc_u64 s[24:25], s[28:29], s[24:25]
	v_lshlrev_b64_e32 v[1:2], 4, v[1:2]
	v_add_co_u32 v4, s3, s28, v5
	s_delay_alu instid0(VALU_DEP_1) | instskip(SKIP_2) | instid1(VALU_DEP_4)
	v_add_co_ci_u32_e64 v18, null, s29, 0, s3
	s_wait_alu 0xfffe
	v_add_co_u32 v5, s3, s24, v5
	v_add_co_u32 v1, vcc_lo, v1, s8
	v_cmp_gt_i32_e64 s2, s21, v17
	s_wait_alu 0xf1ff
	v_add_co_ci_u32_e64 v19, null, s25, 0, s3
	v_or_b32_e32 v20, 8, v4
	v_or_b32_e32 v21, 8, v5
	s_wait_alu 0xfffd
	v_add_co_ci_u32_e64 v22, null, s9, v2, vcc_lo
	v_or_b32_e32 v23, 8, v1
	v_lshlrev_b32_e32 v24, 4, v6
	s_mul_u64 s[26:27], s[10:11], s[18:19]
	s_xor_b32 s20, s20, -1
	s_lshl_b64 s[24:25], s[10:11], 14
	s_lshl_b64 s[26:27], s[26:27], 4
	;; [unrolled: 1-line block ×3, first 2 shown]
	s_branch .LBB6_4
.LBB6_2:                                ;   in Loop: Header=BB6_4 Depth=1
	s_wait_alu 0xfffe
	s_or_b32 exec_lo, exec_lo, s3
.LBB6_3:                                ;   in Loop: Header=BB6_4 Depth=1
	s_add_co_i32 s16, s16, 0x10000
	s_delay_alu instid0(SALU_CYCLE_1)
	s_cmp_lt_u32 s16, s33
	s_cbranch_scc0 .LBB6_19
.LBB6_4:                                ; =>This Loop Header: Depth=1
                                        ;     Child Loop BB6_10 Depth 2
                                        ;     Child Loop BB6_15 Depth 2
	global_load_b64 v[1:2], v3, s[4:5]
	s_wait_loadcnt 0x0
	v_cmp_eq_f64_e32 vcc_lo, 0, v[1:2]
	s_cbranch_vccnz .LBB6_3
; %bb.5:                                ;   in Loop: Header=BB6_4 Depth=1
	s_lshl_b64 s[34:35], s[16:17], 3
	s_wait_alu 0xfffe
	s_add_nc_u64 s[30:31], s[6:7], s[34:35]
	s_add_nc_u64 s[34:35], s[12:13], s[34:35]
	s_load_b64 s[30:31], s[30:31], 0x0
	s_load_b64 s[34:35], s[34:35], 0x0
	s_wait_kmcnt 0x0
	s_add_nc_u64 s[36:37], s[30:31], s[8:9]
	s_wait_alu 0xfffe
	s_add_nc_u64 s[38:39], s[36:37], s[26:27]
	s_wait_alu 0xfffe
	v_dual_mov_b32 v4, s38 :: v_dual_mov_b32 v5, s39
	s_add_nc_u64 s[38:39], s[34:35], s[22:23]
	flat_load_b128 v[5:8], v[4:5]
	s_wait_loadcnt_dscnt 0x0
	v_mul_f64_e32 v[9:10], 0, v[7:8]
	v_mul_f64_e32 v[11:12], v[1:2], v[7:8]
	s_delay_alu instid0(VALU_DEP_2) | instskip(NEXT) | instid1(VALU_DEP_2)
	v_fma_f64 v[9:10], v[1:2], v[5:6], v[9:10]
	v_fma_f64 v[11:12], v[5:6], 0, -v[11:12]
	s_wait_alu 0xfffe
	v_add_co_u32 v1, s3, s38, v24
	s_wait_alu 0xf1ff
	v_add_co_ci_u32_e64 v2, null, s39, 0, s3
	s_mov_b32 s3, -1
	v_add_co_u32 v25, vcc_lo, v1, s14
	s_wait_alu 0xfffd
	v_add_co_ci_u32_e64 v26, null, s15, v2, vcc_lo
	s_and_b32 vcc_lo, exec_lo, s20
	s_wait_alu 0xfffe
	s_cbranch_vccz .LBB6_12
; %bb.6:                                ;   in Loop: Header=BB6_4 Depth=1
	s_and_saveexec_b32 s3, s0
	s_cbranch_execz .LBB6_8
; %bb.7:                                ;   in Loop: Header=BB6_4 Depth=1
	v_add_co_u32 v13, vcc_lo, v25, s28
	s_wait_alu 0xfffd
	v_add_co_ci_u32_e64 v14, null, s29, v26, vcc_lo
	v_mul_f64_e32 v[15:16], v[7:8], v[11:12]
	v_mov_b32_e32 v4, v3
	flat_load_b64 v[1:2], v[13:14]
	v_fma_f64 v[15:16], v[5:6], v[9:10], -v[15:16]
	s_wait_loadcnt_dscnt 0x0
	s_delay_alu instid0(VALU_DEP_1)
	v_add_f64_e32 v[1:2], v[15:16], v[1:2]
	flat_store_b128 v[13:14], v[1:4]
.LBB6_8:                                ;   in Loop: Header=BB6_4 Depth=1
	s_wait_alu 0xfffe
	s_or_b32 exec_lo, exec_lo, s3
	s_and_saveexec_b32 s19, s2
	s_cbranch_execz .LBB6_11
; %bb.9:                                ;   in Loop: Header=BB6_4 Depth=1
	v_add_co_u32 v1, vcc_lo, s34, v21
	s_wait_alu 0xfffd
	v_add_co_ci_u32_e64 v2, null, s35, v19, vcc_lo
	v_mov_b32_e32 v4, v17
	s_mov_b32 s38, 0
.LBB6_10:                               ;   Parent Loop BB6_4 Depth=1
                                        ; =>  This Inner Loop Header: Depth=2
	s_delay_alu instid0(VALU_DEP_1) | instskip(SKIP_3) | instid1(VALU_DEP_4)
	v_ashrrev_i32_e32 v15, 31, v4
	v_mul_lo_u32 v16, s11, v4
	v_mad_co_u64_u32 v[13:14], null, s10, v4, 0
	v_add_nc_u32_e32 v4, 0x400, v4
	v_mul_lo_u32 v15, s10, v15
	s_delay_alu instid0(VALU_DEP_1) | instskip(NEXT) | instid1(VALU_DEP_1)
	v_add3_u32 v14, v14, v15, v16
	v_lshlrev_b64_e32 v[13:14], 4, v[13:14]
	s_delay_alu instid0(VALU_DEP_1) | instskip(SKIP_1) | instid1(VALU_DEP_2)
	v_add_co_u32 v13, vcc_lo, s36, v13
	s_wait_alu 0xfffd
	v_add_co_ci_u32_e64 v14, null, s37, v14, vcc_lo
	v_cmp_le_i32_e32 vcc_lo, s21, v4
	flat_load_b128 v[13:16], v[13:14]
	flat_load_b128 v[27:30], v[1:2] offset:-8
	s_wait_alu 0xfffe
	s_or_b32 s38, vcc_lo, s38
	s_wait_loadcnt_dscnt 0x101
	v_mul_f64_e32 v[31:32], v[11:12], v[15:16]
	v_mul_f64_e32 v[15:16], v[9:10], v[15:16]
	s_delay_alu instid0(VALU_DEP_2) | instskip(NEXT) | instid1(VALU_DEP_2)
	v_fma_f64 v[31:32], v[9:10], v[13:14], -v[31:32]
	v_fma_f64 v[15:16], v[11:12], v[13:14], v[15:16]
	s_wait_loadcnt_dscnt 0x0
	s_delay_alu instid0(VALU_DEP_2) | instskip(NEXT) | instid1(VALU_DEP_2)
	v_add_f64_e32 v[13:14], v[27:28], v[31:32]
	v_add_f64_e32 v[15:16], v[15:16], v[29:30]
	flat_store_b128 v[1:2], v[13:16] offset:-8
	v_add_co_u32 v1, s3, 0x4000, v1
	s_wait_alu 0xf1ff
	v_add_co_ci_u32_e64 v2, null, 0, v2, s3
	s_wait_alu 0xfffe
	s_and_not1_b32 exec_lo, exec_lo, s38
	s_cbranch_execnz .LBB6_10
.LBB6_11:                               ;   in Loop: Header=BB6_4 Depth=1
	s_wait_alu 0xfffe
	s_or_b32 exec_lo, exec_lo, s19
	s_mov_b32 s3, 0
.LBB6_12:                               ;   in Loop: Header=BB6_4 Depth=1
	s_wait_alu 0xfffe
	s_and_b32 vcc_lo, exec_lo, s3
	s_wait_alu 0xfffe
	s_cbranch_vccz .LBB6_3
; %bb.13:                               ;   in Loop: Header=BB6_4 Depth=1
	v_dual_mov_b32 v1, 0 :: v_dual_mov_b32 v4, v0
	v_mov_b32_e32 v2, 0
	s_and_saveexec_b32 s19, s1
	s_cbranch_execz .LBB6_17
; %bb.14:                               ;   in Loop: Header=BB6_4 Depth=1
	v_add_co_u32 v13, vcc_lo, s30, v23
	s_wait_alu 0xfffd
	v_add_co_ci_u32_e64 v14, null, s31, v22, vcc_lo
	v_add_co_u32 v15, vcc_lo, s34, v20
	s_wait_alu 0xfffd
	v_add_co_ci_u32_e64 v16, null, s35, v18, vcc_lo
	s_mov_b32 s30, 0
	s_mov_b32 s31, 0
.LBB6_15:                               ;   Parent Loop BB6_4 Depth=1
                                        ; =>  This Inner Loop Header: Depth=2
	flat_load_b128 v[27:30], v[13:14] offset:-8
	flat_load_b128 v[31:34], v[15:16] offset:-8
	s_wait_alu 0xfffe
	s_addk_co_i32 s31, 0x400
	v_add_co_u32 v13, vcc_lo, v13, s24
	s_wait_alu 0xfffe
	v_add_nc_u32_e32 v4, s31, v0
	s_wait_alu 0xfffd
	v_add_co_ci_u32_e64 v14, null, s25, v14, vcc_lo
	s_delay_alu instid0(VALU_DEP_2) | instskip(SKIP_4) | instid1(VALU_DEP_2)
	v_cmp_le_i32_e32 vcc_lo, s18, v4
	s_or_b32 s30, vcc_lo, s30
	s_wait_loadcnt_dscnt 0x101
	v_mul_f64_e32 v[1:2], v[11:12], v[29:30]
	v_mul_f64_e32 v[29:30], v[9:10], v[29:30]
	v_fma_f64 v[1:2], v[9:10], v[27:28], -v[1:2]
	s_delay_alu instid0(VALU_DEP_2) | instskip(SKIP_1) | instid1(VALU_DEP_2)
	v_fma_f64 v[29:30], v[11:12], v[27:28], v[29:30]
	s_wait_loadcnt_dscnt 0x0
	v_add_f64_e32 v[27:28], v[31:32], v[1:2]
	s_delay_alu instid0(VALU_DEP_2)
	v_add_f64_e32 v[29:30], v[29:30], v[33:34]
	v_mov_b32_e32 v2, s31
	flat_store_b128 v[15:16], v[27:30] offset:-8
	v_add_co_u32 v15, s3, 0x4000, v15
	s_wait_alu 0xf1ff
	v_add_co_ci_u32_e64 v16, null, 0, v16, s3
	s_wait_alu 0xfffe
	s_and_not1_b32 exec_lo, exec_lo, s30
	s_cbranch_execnz .LBB6_15
; %bb.16:                               ;   in Loop: Header=BB6_4 Depth=1
	s_or_b32 exec_lo, exec_lo, s30
	v_mov_b32_e32 v1, v2
	v_mov_b32_e32 v2, v3
.LBB6_17:                               ;   in Loop: Header=BB6_4 Depth=1
	s_wait_alu 0xfffe
	s_or_b32 exec_lo, exec_lo, s19
	s_delay_alu instid0(SALU_CYCLE_1)
	s_mov_b32 s3, exec_lo
	v_cmpx_eq_u32_e64 s18, v4
	s_cbranch_execz .LBB6_2
; %bb.18:                               ;   in Loop: Header=BB6_4 Depth=1
	v_lshlrev_b64_e32 v[1:2], 4, v[1:2]
	v_mul_f64_e32 v[7:8], v[7:8], v[11:12]
	s_delay_alu instid0(VALU_DEP_2) | instskip(SKIP_1) | instid1(VALU_DEP_3)
	v_add_co_u32 v13, vcc_lo, v25, v1
	s_wait_alu 0xfffd
	v_add_co_ci_u32_e64 v14, null, v26, v2, vcc_lo
	flat_load_b64 v[1:2], v[13:14]
	v_fma_f64 v[4:5], v[5:6], v[9:10], -v[7:8]
	s_wait_loadcnt_dscnt 0x0
	s_delay_alu instid0(VALU_DEP_1)
	v_add_f64_e32 v[1:2], v[4:5], v[1:2]
	v_mov_b32_e32 v4, v3
	flat_store_b128 v[13:14], v[1:4]
	s_branch .LBB6_2
.LBB6_19:
	s_endpgm
	.section	.rodata,"a",@progbits
	.p2align	6, 0x0
	.amdhsa_kernel _ZL18rocblas_her_kernelILi1024EPKdPKPK19rocblas_complex_numIdEPKPS3_EvbiT0_T1_lllT2_llli
		.amdhsa_group_segment_fixed_size 0
		.amdhsa_private_segment_fixed_size 0
		.amdhsa_kernarg_size 84
		.amdhsa_user_sgpr_count 2
		.amdhsa_user_sgpr_dispatch_ptr 0
		.amdhsa_user_sgpr_queue_ptr 0
		.amdhsa_user_sgpr_kernarg_segment_ptr 1
		.amdhsa_user_sgpr_dispatch_id 0
		.amdhsa_user_sgpr_private_segment_size 0
		.amdhsa_wavefront_size32 1
		.amdhsa_uses_dynamic_stack 0
		.amdhsa_enable_private_segment 0
		.amdhsa_system_sgpr_workgroup_id_x 1
		.amdhsa_system_sgpr_workgroup_id_y 0
		.amdhsa_system_sgpr_workgroup_id_z 1
		.amdhsa_system_sgpr_workgroup_info 0
		.amdhsa_system_vgpr_workitem_id 0
		.amdhsa_next_free_vgpr 35
		.amdhsa_next_free_sgpr 40
		.amdhsa_reserve_vcc 1
		.amdhsa_float_round_mode_32 0
		.amdhsa_float_round_mode_16_64 0
		.amdhsa_float_denorm_mode_32 3
		.amdhsa_float_denorm_mode_16_64 3
		.amdhsa_fp16_overflow 0
		.amdhsa_workgroup_processor_mode 1
		.amdhsa_memory_ordered 1
		.amdhsa_forward_progress 1
		.amdhsa_inst_pref_size 10
		.amdhsa_round_robin_scheduling 0
		.amdhsa_exception_fp_ieee_invalid_op 0
		.amdhsa_exception_fp_denorm_src 0
		.amdhsa_exception_fp_ieee_div_zero 0
		.amdhsa_exception_fp_ieee_overflow 0
		.amdhsa_exception_fp_ieee_underflow 0
		.amdhsa_exception_fp_ieee_inexact 0
		.amdhsa_exception_int_div_zero 0
	.end_amdhsa_kernel
	.section	.text._ZL18rocblas_her_kernelILi1024EPKdPKPK19rocblas_complex_numIdEPKPS3_EvbiT0_T1_lllT2_llli,"axG",@progbits,_ZL18rocblas_her_kernelILi1024EPKdPKPK19rocblas_complex_numIdEPKPS3_EvbiT0_T1_lllT2_llli,comdat
.Lfunc_end6:
	.size	_ZL18rocblas_her_kernelILi1024EPKdPKPK19rocblas_complex_numIdEPKPS3_EvbiT0_T1_lllT2_llli, .Lfunc_end6-_ZL18rocblas_her_kernelILi1024EPKdPKPK19rocblas_complex_numIdEPKPS3_EvbiT0_T1_lllT2_llli
                                        ; -- End function
	.set _ZL18rocblas_her_kernelILi1024EPKdPKPK19rocblas_complex_numIdEPKPS3_EvbiT0_T1_lllT2_llli.num_vgpr, 35
	.set _ZL18rocblas_her_kernelILi1024EPKdPKPK19rocblas_complex_numIdEPKPS3_EvbiT0_T1_lllT2_llli.num_agpr, 0
	.set _ZL18rocblas_her_kernelILi1024EPKdPKPK19rocblas_complex_numIdEPKPS3_EvbiT0_T1_lllT2_llli.numbered_sgpr, 40
	.set _ZL18rocblas_her_kernelILi1024EPKdPKPK19rocblas_complex_numIdEPKPS3_EvbiT0_T1_lllT2_llli.num_named_barrier, 0
	.set _ZL18rocblas_her_kernelILi1024EPKdPKPK19rocblas_complex_numIdEPKPS3_EvbiT0_T1_lllT2_llli.private_seg_size, 0
	.set _ZL18rocblas_her_kernelILi1024EPKdPKPK19rocblas_complex_numIdEPKPS3_EvbiT0_T1_lllT2_llli.uses_vcc, 1
	.set _ZL18rocblas_her_kernelILi1024EPKdPKPK19rocblas_complex_numIdEPKPS3_EvbiT0_T1_lllT2_llli.uses_flat_scratch, 0
	.set _ZL18rocblas_her_kernelILi1024EPKdPKPK19rocblas_complex_numIdEPKPS3_EvbiT0_T1_lllT2_llli.has_dyn_sized_stack, 0
	.set _ZL18rocblas_her_kernelILi1024EPKdPKPK19rocblas_complex_numIdEPKPS3_EvbiT0_T1_lllT2_llli.has_recursion, 0
	.set _ZL18rocblas_her_kernelILi1024EPKdPKPK19rocblas_complex_numIdEPKPS3_EvbiT0_T1_lllT2_llli.has_indirect_call, 0
	.section	.AMDGPU.csdata,"",@progbits
; Kernel info:
; codeLenInByte = 1260
; TotalNumSgprs: 42
; NumVgprs: 35
; ScratchSize: 0
; MemoryBound: 0
; FloatMode: 240
; IeeeMode: 1
; LDSByteSize: 0 bytes/workgroup (compile time only)
; SGPRBlocks: 0
; VGPRBlocks: 4
; NumSGPRsForWavesPerEU: 42
; NumVGPRsForWavesPerEU: 35
; Occupancy: 16
; WaveLimiterHint : 1
; COMPUTE_PGM_RSRC2:SCRATCH_EN: 0
; COMPUTE_PGM_RSRC2:USER_SGPR: 2
; COMPUTE_PGM_RSRC2:TRAP_HANDLER: 0
; COMPUTE_PGM_RSRC2:TGID_X_EN: 1
; COMPUTE_PGM_RSRC2:TGID_Y_EN: 0
; COMPUTE_PGM_RSRC2:TGID_Z_EN: 1
; COMPUTE_PGM_RSRC2:TIDIG_COMP_CNT: 0
	.section	.text._ZL18rocblas_her_kernelILi1024EdPKPK19rocblas_complex_numIdEPKPS1_EvbiT0_T1_lllT2_llli,"axG",@progbits,_ZL18rocblas_her_kernelILi1024EdPKPK19rocblas_complex_numIdEPKPS1_EvbiT0_T1_lllT2_llli,comdat
	.globl	_ZL18rocblas_her_kernelILi1024EdPKPK19rocblas_complex_numIdEPKPS1_EvbiT0_T1_lllT2_llli ; -- Begin function _ZL18rocblas_her_kernelILi1024EdPKPK19rocblas_complex_numIdEPKPS1_EvbiT0_T1_lllT2_llli
	.p2align	8
	.type	_ZL18rocblas_her_kernelILi1024EdPKPK19rocblas_complex_numIdEPKPS1_EvbiT0_T1_lllT2_llli,@function
_ZL18rocblas_her_kernelILi1024EdPKPK19rocblas_complex_numIdEPKPS1_EvbiT0_T1_lllT2_llli: ; @_ZL18rocblas_her_kernelILi1024EdPKPK19rocblas_complex_numIdEPKPS1_EvbiT0_T1_lllT2_llli
; %bb.0:
	s_load_b32 s33, s[0:1], 0x50
	s_lshr_b32 s16, ttmp7, 16
	s_wait_kmcnt 0x0
	s_cmp_ge_u32 s16, s33
	s_cbranch_scc1 .LBB7_19
; %bb.1:
	s_clause 0x3
	s_load_b64 s[20:21], s[0:1], 0x0
	s_load_b256 s[4:11], s[0:1], 0x8
	s_load_b64 s[2:3], s[0:1], 0x40
	s_load_b128 s[12:15], s[0:1], 0x30
	s_mov_b32 s18, ttmp9
	v_cmp_eq_u32_e64 s0, 0, v0
	v_cmp_gt_i32_e64 s1, ttmp9, v0
	s_mov_b32 s17, 0
	s_wait_kmcnt 0x0
	s_bitcmp1_b32 s20, 0
	v_cmp_neq_f64_e64 s20, s[4:5], 0
	v_mad_co_u64_u32 v[1:2], null, s10, v0, 0
	v_cmp_gt_i32_e32 vcc_lo, s21, v0
	v_mov_b32_e32 v3, 0
	s_cselect_b32 s25, -1, 0
	s_add_co_i32 s24, ttmp9, 1
	s_ashr_i32 s19, ttmp9, 31
	v_cndmask_b32_e32 v6, 0, v0, vcc_lo
	s_delay_alu instid0(VALU_DEP_4)
	v_mad_co_u64_u32 v[4:5], null, s11, v0, v[2:3]
	v_add_nc_u32_e32 v17, s24, v0
	s_lshl_b64 s[22:23], s[2:3], 4
	s_mul_u64 s[2:3], s[14:15], s[18:19]
	v_lshlrev_b32_e32 v5, 4, v6
	s_xor_b32 s38, s25, -1
	s_ashr_i32 s25, s24, 31
	s_delay_alu instid0(VALU_DEP_3)
	v_mov_b32_e32 v2, v4
	s_lshl_b64 s[14:15], s[2:3], 4
	s_wait_alu 0xfffe
	s_lshl_b64 s[24:25], s[24:25], 4
	s_add_nc_u64 s[28:29], s[14:15], s[22:23]
	s_lshl_b64 s[8:9], s[8:9], 4
	v_lshlrev_b64_e32 v[1:2], 4, v[1:2]
	s_wait_alu 0xfffe
	s_add_nc_u64 s[24:25], s[28:29], s[24:25]
	v_add_co_u32 v4, s3, s28, v5
	s_delay_alu instid0(VALU_DEP_1)
	v_add_co_ci_u32_e64 v18, null, s29, 0, s3
	s_wait_alu 0xfffe
	v_add_co_u32 v5, s3, s24, v5
	v_add_co_u32 v1, vcc_lo, v1, s8
	v_cmp_gt_i32_e64 s2, s21, v17
	s_wait_alu 0xf1ff
	v_add_co_ci_u32_e64 v19, null, s25, 0, s3
	v_or_b32_e32 v20, 8, v4
	v_or_b32_e32 v21, 8, v5
	s_wait_alu 0xfffd
	v_add_co_ci_u32_e64 v22, null, s9, v2, vcc_lo
	v_or_b32_e32 v23, 8, v1
	v_lshlrev_b32_e32 v24, 4, v6
	s_mul_u64 s[26:27], s[10:11], s[18:19]
	s_lshl_b64 s[24:25], s[10:11], 14
	s_lshl_b64 s[26:27], s[26:27], 4
	;; [unrolled: 1-line block ×3, first 2 shown]
	s_branch .LBB7_4
.LBB7_2:                                ;   in Loop: Header=BB7_4 Depth=1
	s_wait_alu 0xfffe
	s_or_b32 exec_lo, exec_lo, s3
.LBB7_3:                                ;   in Loop: Header=BB7_4 Depth=1
	s_add_co_i32 s16, s16, 0x10000
	s_delay_alu instid0(SALU_CYCLE_1)
	s_cmp_lt_u32 s16, s33
	s_cbranch_scc0 .LBB7_19
.LBB7_4:                                ; =>This Loop Header: Depth=1
                                        ;     Child Loop BB7_10 Depth 2
                                        ;     Child Loop BB7_15 Depth 2
	s_and_not1_b32 vcc_lo, exec_lo, s20
	s_wait_alu 0xfffe
	s_cbranch_vccnz .LBB7_3
; %bb.5:                                ;   in Loop: Header=BB7_4 Depth=1
	s_lshl_b64 s[34:35], s[16:17], 3
	s_wait_alu 0xfffe
	s_add_nc_u64 s[30:31], s[6:7], s[34:35]
	s_add_nc_u64 s[34:35], s[12:13], s[34:35]
	s_load_b64 s[30:31], s[30:31], 0x0
	s_load_b64 s[34:35], s[34:35], 0x0
	s_wait_kmcnt 0x0
	s_add_nc_u64 s[36:37], s[30:31], s[8:9]
	s_wait_alu 0xfffe
	s_add_nc_u64 s[40:41], s[36:37], s[26:27]
	s_wait_alu 0xfffe
	v_dual_mov_b32 v1, s40 :: v_dual_mov_b32 v2, s41
	s_add_nc_u64 s[40:41], s[34:35], s[22:23]
	flat_load_b128 v[5:8], v[1:2]
	s_wait_loadcnt_dscnt 0x0
	v_mul_f64_e32 v[1:2], 0, v[7:8]
	v_mul_f64_e32 v[11:12], s[4:5], v[7:8]
	s_delay_alu instid0(VALU_DEP_2) | instskip(NEXT) | instid1(VALU_DEP_2)
	v_fma_f64 v[9:10], s[4:5], v[5:6], v[1:2]
	v_fma_f64 v[11:12], v[5:6], 0, -v[11:12]
	s_wait_alu 0xfffe
	v_add_co_u32 v1, s3, s40, v24
	s_wait_alu 0xf1ff
	v_add_co_ci_u32_e64 v2, null, s41, 0, s3
	s_mov_b32 s3, -1
	v_add_co_u32 v25, vcc_lo, v1, s14
	s_wait_alu 0xfffd
	v_add_co_ci_u32_e64 v26, null, s15, v2, vcc_lo
	s_and_b32 vcc_lo, exec_lo, s38
	s_wait_alu 0xfffe
	s_cbranch_vccz .LBB7_12
; %bb.6:                                ;   in Loop: Header=BB7_4 Depth=1
	s_and_saveexec_b32 s3, s0
	s_cbranch_execz .LBB7_8
; %bb.7:                                ;   in Loop: Header=BB7_4 Depth=1
	v_add_co_u32 v13, vcc_lo, v25, s28
	s_wait_alu 0xfffd
	v_add_co_ci_u32_e64 v14, null, s29, v26, vcc_lo
	v_mul_f64_e32 v[15:16], v[7:8], v[11:12]
	v_mov_b32_e32 v4, v3
	flat_load_b64 v[1:2], v[13:14]
	v_fma_f64 v[15:16], v[5:6], v[9:10], -v[15:16]
	s_wait_loadcnt_dscnt 0x0
	s_delay_alu instid0(VALU_DEP_1)
	v_add_f64_e32 v[1:2], v[15:16], v[1:2]
	flat_store_b128 v[13:14], v[1:4]
.LBB7_8:                                ;   in Loop: Header=BB7_4 Depth=1
	s_wait_alu 0xfffe
	s_or_b32 exec_lo, exec_lo, s3
	s_and_saveexec_b32 s19, s2
	s_cbranch_execz .LBB7_11
; %bb.9:                                ;   in Loop: Header=BB7_4 Depth=1
	v_add_co_u32 v1, vcc_lo, s34, v21
	s_wait_alu 0xfffd
	v_add_co_ci_u32_e64 v2, null, s35, v19, vcc_lo
	v_mov_b32_e32 v4, v17
	s_mov_b32 s39, 0
.LBB7_10:                               ;   Parent Loop BB7_4 Depth=1
                                        ; =>  This Inner Loop Header: Depth=2
	s_delay_alu instid0(VALU_DEP_1) | instskip(SKIP_3) | instid1(VALU_DEP_4)
	v_ashrrev_i32_e32 v15, 31, v4
	v_mul_lo_u32 v16, s11, v4
	v_mad_co_u64_u32 v[13:14], null, s10, v4, 0
	v_add_nc_u32_e32 v4, 0x400, v4
	v_mul_lo_u32 v15, s10, v15
	s_delay_alu instid0(VALU_DEP_1) | instskip(NEXT) | instid1(VALU_DEP_1)
	v_add3_u32 v14, v14, v15, v16
	v_lshlrev_b64_e32 v[13:14], 4, v[13:14]
	s_delay_alu instid0(VALU_DEP_1) | instskip(SKIP_1) | instid1(VALU_DEP_2)
	v_add_co_u32 v13, vcc_lo, s36, v13
	s_wait_alu 0xfffd
	v_add_co_ci_u32_e64 v14, null, s37, v14, vcc_lo
	v_cmp_le_i32_e32 vcc_lo, s21, v4
	flat_load_b128 v[13:16], v[13:14]
	flat_load_b128 v[27:30], v[1:2] offset:-8
	s_or_b32 s39, vcc_lo, s39
	s_wait_loadcnt_dscnt 0x101
	v_mul_f64_e32 v[31:32], v[11:12], v[15:16]
	v_mul_f64_e32 v[15:16], v[9:10], v[15:16]
	s_delay_alu instid0(VALU_DEP_2) | instskip(NEXT) | instid1(VALU_DEP_2)
	v_fma_f64 v[31:32], v[9:10], v[13:14], -v[31:32]
	v_fma_f64 v[15:16], v[11:12], v[13:14], v[15:16]
	s_wait_loadcnt_dscnt 0x0
	s_delay_alu instid0(VALU_DEP_2) | instskip(NEXT) | instid1(VALU_DEP_2)
	v_add_f64_e32 v[13:14], v[27:28], v[31:32]
	v_add_f64_e32 v[15:16], v[15:16], v[29:30]
	flat_store_b128 v[1:2], v[13:16] offset:-8
	v_add_co_u32 v1, s3, 0x4000, v1
	s_wait_alu 0xf1ff
	v_add_co_ci_u32_e64 v2, null, 0, v2, s3
	s_and_not1_b32 exec_lo, exec_lo, s39
	s_cbranch_execnz .LBB7_10
.LBB7_11:                               ;   in Loop: Header=BB7_4 Depth=1
	s_wait_alu 0xfffe
	s_or_b32 exec_lo, exec_lo, s19
	s_mov_b32 s3, 0
.LBB7_12:                               ;   in Loop: Header=BB7_4 Depth=1
	s_wait_alu 0xfffe
	s_and_b32 vcc_lo, exec_lo, s3
	s_wait_alu 0xfffe
	s_cbranch_vccz .LBB7_3
; %bb.13:                               ;   in Loop: Header=BB7_4 Depth=1
	v_dual_mov_b32 v1, 0 :: v_dual_mov_b32 v4, v0
	v_mov_b32_e32 v2, 0
	s_and_saveexec_b32 s19, s1
	s_cbranch_execz .LBB7_17
; %bb.14:                               ;   in Loop: Header=BB7_4 Depth=1
	v_add_co_u32 v13, vcc_lo, s30, v23
	s_wait_alu 0xfffd
	v_add_co_ci_u32_e64 v14, null, s31, v22, vcc_lo
	v_add_co_u32 v15, vcc_lo, s34, v20
	s_wait_alu 0xfffd
	v_add_co_ci_u32_e64 v16, null, s35, v18, vcc_lo
	s_mov_b32 s30, 0
	s_mov_b32 s31, 0
.LBB7_15:                               ;   Parent Loop BB7_4 Depth=1
                                        ; =>  This Inner Loop Header: Depth=2
	flat_load_b128 v[27:30], v[13:14] offset:-8
	flat_load_b128 v[31:34], v[15:16] offset:-8
	s_wait_alu 0xfffe
	s_addk_co_i32 s31, 0x400
	v_add_co_u32 v13, vcc_lo, v13, s24
	s_wait_alu 0xfffe
	v_add_nc_u32_e32 v4, s31, v0
	s_wait_alu 0xfffd
	v_add_co_ci_u32_e64 v14, null, s25, v14, vcc_lo
	s_delay_alu instid0(VALU_DEP_2) | instskip(SKIP_4) | instid1(VALU_DEP_2)
	v_cmp_le_i32_e32 vcc_lo, s18, v4
	s_or_b32 s30, vcc_lo, s30
	s_wait_loadcnt_dscnt 0x101
	v_mul_f64_e32 v[1:2], v[11:12], v[29:30]
	v_mul_f64_e32 v[29:30], v[9:10], v[29:30]
	v_fma_f64 v[1:2], v[9:10], v[27:28], -v[1:2]
	s_delay_alu instid0(VALU_DEP_2) | instskip(SKIP_1) | instid1(VALU_DEP_2)
	v_fma_f64 v[29:30], v[11:12], v[27:28], v[29:30]
	s_wait_loadcnt_dscnt 0x0
	v_add_f64_e32 v[27:28], v[31:32], v[1:2]
	s_delay_alu instid0(VALU_DEP_2)
	v_add_f64_e32 v[29:30], v[29:30], v[33:34]
	v_mov_b32_e32 v2, s31
	flat_store_b128 v[15:16], v[27:30] offset:-8
	v_add_co_u32 v15, s3, 0x4000, v15
	s_wait_alu 0xf1ff
	v_add_co_ci_u32_e64 v16, null, 0, v16, s3
	s_wait_alu 0xfffe
	s_and_not1_b32 exec_lo, exec_lo, s30
	s_cbranch_execnz .LBB7_15
; %bb.16:                               ;   in Loop: Header=BB7_4 Depth=1
	s_or_b32 exec_lo, exec_lo, s30
	v_mov_b32_e32 v1, v2
	v_mov_b32_e32 v2, v3
.LBB7_17:                               ;   in Loop: Header=BB7_4 Depth=1
	s_wait_alu 0xfffe
	s_or_b32 exec_lo, exec_lo, s19
	s_delay_alu instid0(SALU_CYCLE_1)
	s_mov_b32 s3, exec_lo
	v_cmpx_eq_u32_e64 s18, v4
	s_cbranch_execz .LBB7_2
; %bb.18:                               ;   in Loop: Header=BB7_4 Depth=1
	v_lshlrev_b64_e32 v[1:2], 4, v[1:2]
	v_mul_f64_e32 v[7:8], v[7:8], v[11:12]
	s_delay_alu instid0(VALU_DEP_2) | instskip(SKIP_1) | instid1(VALU_DEP_3)
	v_add_co_u32 v13, vcc_lo, v25, v1
	s_wait_alu 0xfffd
	v_add_co_ci_u32_e64 v14, null, v26, v2, vcc_lo
	flat_load_b64 v[1:2], v[13:14]
	v_fma_f64 v[4:5], v[5:6], v[9:10], -v[7:8]
	s_wait_loadcnt_dscnt 0x0
	s_delay_alu instid0(VALU_DEP_1)
	v_add_f64_e32 v[1:2], v[4:5], v[1:2]
	v_mov_b32_e32 v4, v3
	flat_store_b128 v[13:14], v[1:4]
	s_branch .LBB7_2
.LBB7_19:
	s_endpgm
	.section	.rodata,"a",@progbits
	.p2align	6, 0x0
	.amdhsa_kernel _ZL18rocblas_her_kernelILi1024EdPKPK19rocblas_complex_numIdEPKPS1_EvbiT0_T1_lllT2_llli
		.amdhsa_group_segment_fixed_size 0
		.amdhsa_private_segment_fixed_size 0
		.amdhsa_kernarg_size 84
		.amdhsa_user_sgpr_count 2
		.amdhsa_user_sgpr_dispatch_ptr 0
		.amdhsa_user_sgpr_queue_ptr 0
		.amdhsa_user_sgpr_kernarg_segment_ptr 1
		.amdhsa_user_sgpr_dispatch_id 0
		.amdhsa_user_sgpr_private_segment_size 0
		.amdhsa_wavefront_size32 1
		.amdhsa_uses_dynamic_stack 0
		.amdhsa_enable_private_segment 0
		.amdhsa_system_sgpr_workgroup_id_x 1
		.amdhsa_system_sgpr_workgroup_id_y 0
		.amdhsa_system_sgpr_workgroup_id_z 1
		.amdhsa_system_sgpr_workgroup_info 0
		.amdhsa_system_vgpr_workitem_id 0
		.amdhsa_next_free_vgpr 35
		.amdhsa_next_free_sgpr 42
		.amdhsa_reserve_vcc 1
		.amdhsa_float_round_mode_32 0
		.amdhsa_float_round_mode_16_64 0
		.amdhsa_float_denorm_mode_32 3
		.amdhsa_float_denorm_mode_16_64 3
		.amdhsa_fp16_overflow 0
		.amdhsa_workgroup_processor_mode 1
		.amdhsa_memory_ordered 1
		.amdhsa_forward_progress 1
		.amdhsa_inst_pref_size 10
		.amdhsa_round_robin_scheduling 0
		.amdhsa_exception_fp_ieee_invalid_op 0
		.amdhsa_exception_fp_denorm_src 0
		.amdhsa_exception_fp_ieee_div_zero 0
		.amdhsa_exception_fp_ieee_overflow 0
		.amdhsa_exception_fp_ieee_underflow 0
		.amdhsa_exception_fp_ieee_inexact 0
		.amdhsa_exception_int_div_zero 0
	.end_amdhsa_kernel
	.section	.text._ZL18rocblas_her_kernelILi1024EdPKPK19rocblas_complex_numIdEPKPS1_EvbiT0_T1_lllT2_llli,"axG",@progbits,_ZL18rocblas_her_kernelILi1024EdPKPK19rocblas_complex_numIdEPKPS1_EvbiT0_T1_lllT2_llli,comdat
.Lfunc_end7:
	.size	_ZL18rocblas_her_kernelILi1024EdPKPK19rocblas_complex_numIdEPKPS1_EvbiT0_T1_lllT2_llli, .Lfunc_end7-_ZL18rocblas_her_kernelILi1024EdPKPK19rocblas_complex_numIdEPKPS1_EvbiT0_T1_lllT2_llli
                                        ; -- End function
	.set _ZL18rocblas_her_kernelILi1024EdPKPK19rocblas_complex_numIdEPKPS1_EvbiT0_T1_lllT2_llli.num_vgpr, 35
	.set _ZL18rocblas_her_kernelILi1024EdPKPK19rocblas_complex_numIdEPKPS1_EvbiT0_T1_lllT2_llli.num_agpr, 0
	.set _ZL18rocblas_her_kernelILi1024EdPKPK19rocblas_complex_numIdEPKPS1_EvbiT0_T1_lllT2_llli.numbered_sgpr, 42
	.set _ZL18rocblas_her_kernelILi1024EdPKPK19rocblas_complex_numIdEPKPS1_EvbiT0_T1_lllT2_llli.num_named_barrier, 0
	.set _ZL18rocblas_her_kernelILi1024EdPKPK19rocblas_complex_numIdEPKPS1_EvbiT0_T1_lllT2_llli.private_seg_size, 0
	.set _ZL18rocblas_her_kernelILi1024EdPKPK19rocblas_complex_numIdEPKPS1_EvbiT0_T1_lllT2_llli.uses_vcc, 1
	.set _ZL18rocblas_her_kernelILi1024EdPKPK19rocblas_complex_numIdEPKPS1_EvbiT0_T1_lllT2_llli.uses_flat_scratch, 0
	.set _ZL18rocblas_her_kernelILi1024EdPKPK19rocblas_complex_numIdEPKPS1_EvbiT0_T1_lllT2_llli.has_dyn_sized_stack, 0
	.set _ZL18rocblas_her_kernelILi1024EdPKPK19rocblas_complex_numIdEPKPS1_EvbiT0_T1_lllT2_llli.has_recursion, 0
	.set _ZL18rocblas_her_kernelILi1024EdPKPK19rocblas_complex_numIdEPKPS1_EvbiT0_T1_lllT2_llli.has_indirect_call, 0
	.section	.AMDGPU.csdata,"",@progbits
; Kernel info:
; codeLenInByte = 1248
; TotalNumSgprs: 44
; NumVgprs: 35
; ScratchSize: 0
; MemoryBound: 0
; FloatMode: 240
; IeeeMode: 1
; LDSByteSize: 0 bytes/workgroup (compile time only)
; SGPRBlocks: 0
; VGPRBlocks: 4
; NumSGPRsForWavesPerEU: 44
; NumVGPRsForWavesPerEU: 35
; Occupancy: 16
; WaveLimiterHint : 1
; COMPUTE_PGM_RSRC2:SCRATCH_EN: 0
; COMPUTE_PGM_RSRC2:USER_SGPR: 2
; COMPUTE_PGM_RSRC2:TRAP_HANDLER: 0
; COMPUTE_PGM_RSRC2:TGID_X_EN: 1
; COMPUTE_PGM_RSRC2:TGID_Y_EN: 0
; COMPUTE_PGM_RSRC2:TGID_Z_EN: 1
; COMPUTE_PGM_RSRC2:TIDIG_COMP_CNT: 0
	.section	.AMDGPU.gpr_maximums,"",@progbits
	.set amdgpu.max_num_vgpr, 0
	.set amdgpu.max_num_agpr, 0
	.set amdgpu.max_num_sgpr, 0
	.section	.AMDGPU.csdata,"",@progbits
	.type	__hip_cuid_18b62990d32a90a7,@object ; @__hip_cuid_18b62990d32a90a7
	.section	.bss,"aw",@nobits
	.globl	__hip_cuid_18b62990d32a90a7
__hip_cuid_18b62990d32a90a7:
	.byte	0                               ; 0x0
	.size	__hip_cuid_18b62990d32a90a7, 1

	.ident	"AMD clang version 22.0.0git (https://github.com/RadeonOpenCompute/llvm-project roc-7.2.4 26084 f58b06dce1f9c15707c5f808fd002e18c2accf7e)"
	.section	".note.GNU-stack","",@progbits
	.addrsig
	.addrsig_sym __hip_cuid_18b62990d32a90a7
	.amdgpu_metadata
---
amdhsa.kernels:
  - .args:
      - .offset:         0
        .size:           1
        .value_kind:     by_value
      - .offset:         4
        .size:           4
        .value_kind:     by_value
      - .address_space:  global
        .offset:         8
        .size:           8
        .value_kind:     global_buffer
      - .address_space:  global
        .offset:         16
        .size:           8
        .value_kind:     global_buffer
      - .offset:         24
        .size:           8
        .value_kind:     by_value
      - .offset:         32
        .size:           8
        .value_kind:     by_value
      - .offset:         40
        .size:           8
        .value_kind:     by_value
      - .address_space:  global
        .offset:         48
        .size:           8
        .value_kind:     global_buffer
      - .offset:         56
        .size:           8
        .value_kind:     by_value
      - .offset:         64
        .size:           8
        .value_kind:     by_value
      - .offset:         72
        .size:           8
        .value_kind:     by_value
      - .offset:         80
        .size:           4
        .value_kind:     by_value
    .group_segment_fixed_size: 0
    .kernarg_segment_align: 8
    .kernarg_segment_size: 84
    .language:       OpenCL C
    .language_version:
      - 2
      - 0
    .max_flat_workgroup_size: 1024
    .name:           _ZL18rocblas_her_kernelILi1024EPKfPK19rocblas_complex_numIfEPS3_EvbiT0_T1_lllT2_llli
    .private_segment_fixed_size: 0
    .sgpr_count:     46
    .sgpr_spill_count: 0
    .symbol:         _ZL18rocblas_her_kernelILi1024EPKfPK19rocblas_complex_numIfEPS3_EvbiT0_T1_lllT2_llli.kd
    .uniform_work_group_size: 1
    .uses_dynamic_stack: false
    .vgpr_count:     24
    .vgpr_spill_count: 0
    .wavefront_size: 32
    .workgroup_processor_mode: 1
  - .args:
      - .offset:         0
        .size:           1
        .value_kind:     by_value
      - .offset:         4
        .size:           4
        .value_kind:     by_value
      - .offset:         8
        .size:           4
        .value_kind:     by_value
      - .address_space:  global
        .offset:         16
        .size:           8
        .value_kind:     global_buffer
      - .offset:         24
        .size:           8
        .value_kind:     by_value
      - .offset:         32
        .size:           8
        .value_kind:     by_value
      - .offset:         40
        .size:           8
        .value_kind:     by_value
      - .address_space:  global
        .offset:         48
        .size:           8
        .value_kind:     global_buffer
      - .offset:         56
        .size:           8
        .value_kind:     by_value
      - .offset:         64
        .size:           8
        .value_kind:     by_value
      - .offset:         72
        .size:           8
        .value_kind:     by_value
      - .offset:         80
        .size:           4
        .value_kind:     by_value
    .group_segment_fixed_size: 0
    .kernarg_segment_align: 8
    .kernarg_segment_size: 84
    .language:       OpenCL C
    .language_version:
      - 2
      - 0
    .max_flat_workgroup_size: 1024
    .name:           _ZL18rocblas_her_kernelILi1024EfPK19rocblas_complex_numIfEPS1_EvbiT0_T1_lllT2_llli
    .private_segment_fixed_size: 0
    .sgpr_count:     44
    .sgpr_spill_count: 0
    .symbol:         _ZL18rocblas_her_kernelILi1024EfPK19rocblas_complex_numIfEPS1_EvbiT0_T1_lllT2_llli.kd
    .uniform_work_group_size: 1
    .uses_dynamic_stack: false
    .vgpr_count:     24
    .vgpr_spill_count: 0
    .wavefront_size: 32
    .workgroup_processor_mode: 1
  - .args:
      - .offset:         0
        .size:           1
        .value_kind:     by_value
      - .offset:         4
        .size:           4
        .value_kind:     by_value
      - .address_space:  global
        .offset:         8
        .size:           8
        .value_kind:     global_buffer
      - .address_space:  global
        .offset:         16
        .size:           8
        .value_kind:     global_buffer
      - .offset:         24
        .size:           8
        .value_kind:     by_value
      - .offset:         32
        .size:           8
        .value_kind:     by_value
      - .offset:         40
        .size:           8
        .value_kind:     by_value
      - .address_space:  global
        .offset:         48
        .size:           8
        .value_kind:     global_buffer
      - .offset:         56
        .size:           8
        .value_kind:     by_value
      - .offset:         64
        .size:           8
        .value_kind:     by_value
      - .offset:         72
        .size:           8
        .value_kind:     by_value
      - .offset:         80
        .size:           4
        .value_kind:     by_value
    .group_segment_fixed_size: 0
    .kernarg_segment_align: 8
    .kernarg_segment_size: 84
    .language:       OpenCL C
    .language_version:
      - 2
      - 0
    .max_flat_workgroup_size: 1024
    .name:           _ZL18rocblas_her_kernelILi1024EPKdPK19rocblas_complex_numIdEPS3_EvbiT0_T1_lllT2_llli
    .private_segment_fixed_size: 0
    .sgpr_count:     44
    .sgpr_spill_count: 0
    .symbol:         _ZL18rocblas_her_kernelILi1024EPKdPK19rocblas_complex_numIdEPS3_EvbiT0_T1_lllT2_llli.kd
    .uniform_work_group_size: 1
    .uses_dynamic_stack: false
    .vgpr_count:     32
    .vgpr_spill_count: 0
    .wavefront_size: 32
    .workgroup_processor_mode: 1
  - .args:
      - .offset:         0
        .size:           1
        .value_kind:     by_value
      - .offset:         4
        .size:           4
        .value_kind:     by_value
      - .offset:         8
        .size:           8
        .value_kind:     by_value
      - .address_space:  global
        .offset:         16
        .size:           8
        .value_kind:     global_buffer
      - .offset:         24
        .size:           8
        .value_kind:     by_value
      - .offset:         32
        .size:           8
        .value_kind:     by_value
      - .offset:         40
        .size:           8
        .value_kind:     by_value
      - .address_space:  global
        .offset:         48
        .size:           8
        .value_kind:     global_buffer
      - .offset:         56
        .size:           8
        .value_kind:     by_value
      - .offset:         64
        .size:           8
        .value_kind:     by_value
      - .offset:         72
        .size:           8
        .value_kind:     by_value
      - .offset:         80
        .size:           4
        .value_kind:     by_value
    .group_segment_fixed_size: 0
    .kernarg_segment_align: 8
    .kernarg_segment_size: 84
    .language:       OpenCL C
    .language_version:
      - 2
      - 0
    .max_flat_workgroup_size: 1024
    .name:           _ZL18rocblas_her_kernelILi1024EdPK19rocblas_complex_numIdEPS1_EvbiT0_T1_lllT2_llli
    .private_segment_fixed_size: 0
    .sgpr_count:     46
    .sgpr_spill_count: 0
    .symbol:         _ZL18rocblas_her_kernelILi1024EdPK19rocblas_complex_numIdEPS1_EvbiT0_T1_lllT2_llli.kd
    .uniform_work_group_size: 1
    .uses_dynamic_stack: false
    .vgpr_count:     32
    .vgpr_spill_count: 0
    .wavefront_size: 32
    .workgroup_processor_mode: 1
  - .args:
      - .offset:         0
        .size:           1
        .value_kind:     by_value
      - .offset:         4
        .size:           4
        .value_kind:     by_value
      - .address_space:  global
        .offset:         8
        .size:           8
        .value_kind:     global_buffer
      - .address_space:  global
        .offset:         16
        .size:           8
        .value_kind:     global_buffer
      - .offset:         24
        .size:           8
        .value_kind:     by_value
      - .offset:         32
        .size:           8
        .value_kind:     by_value
      - .offset:         40
        .size:           8
        .value_kind:     by_value
      - .address_space:  global
        .offset:         48
        .size:           8
        .value_kind:     global_buffer
      - .offset:         56
        .size:           8
        .value_kind:     by_value
      - .offset:         64
        .size:           8
        .value_kind:     by_value
      - .offset:         72
        .size:           8
        .value_kind:     by_value
      - .offset:         80
        .size:           4
        .value_kind:     by_value
    .group_segment_fixed_size: 0
    .kernarg_segment_align: 8
    .kernarg_segment_size: 84
    .language:       OpenCL C
    .language_version:
      - 2
      - 0
    .max_flat_workgroup_size: 1024
    .name:           _ZL18rocblas_her_kernelILi1024EPKfPKPK19rocblas_complex_numIfEPKPS3_EvbiT0_T1_lllT2_llli
    .private_segment_fixed_size: 0
    .sgpr_count:     40
    .sgpr_spill_count: 0
    .symbol:         _ZL18rocblas_her_kernelILi1024EPKfPKPK19rocblas_complex_numIfEPKPS3_EvbiT0_T1_lllT2_llli.kd
    .uniform_work_group_size: 1
    .uses_dynamic_stack: false
    .vgpr_count:     30
    .vgpr_spill_count: 0
    .wavefront_size: 32
    .workgroup_processor_mode: 1
  - .args:
      - .offset:         0
        .size:           1
        .value_kind:     by_value
      - .offset:         4
        .size:           4
        .value_kind:     by_value
      - .offset:         8
        .size:           4
        .value_kind:     by_value
      - .address_space:  global
        .offset:         16
        .size:           8
        .value_kind:     global_buffer
      - .offset:         24
        .size:           8
        .value_kind:     by_value
      - .offset:         32
        .size:           8
        .value_kind:     by_value
      - .offset:         40
        .size:           8
        .value_kind:     by_value
      - .address_space:  global
        .offset:         48
        .size:           8
        .value_kind:     global_buffer
      - .offset:         56
        .size:           8
        .value_kind:     by_value
      - .offset:         64
        .size:           8
        .value_kind:     by_value
      - .offset:         72
        .size:           8
        .value_kind:     by_value
      - .offset:         80
        .size:           4
        .value_kind:     by_value
    .group_segment_fixed_size: 0
    .kernarg_segment_align: 8
    .kernarg_segment_size: 84
    .language:       OpenCL C
    .language_version:
      - 2
      - 0
    .max_flat_workgroup_size: 1024
    .name:           _ZL18rocblas_her_kernelILi1024EfPKPK19rocblas_complex_numIfEPKPS1_EvbiT0_T1_lllT2_llli
    .private_segment_fixed_size: 0
    .sgpr_count:     40
    .sgpr_spill_count: 0
    .symbol:         _ZL18rocblas_her_kernelILi1024EfPKPK19rocblas_complex_numIfEPKPS1_EvbiT0_T1_lllT2_llli.kd
    .uniform_work_group_size: 1
    .uses_dynamic_stack: false
    .vgpr_count:     30
    .vgpr_spill_count: 0
    .wavefront_size: 32
    .workgroup_processor_mode: 1
  - .args:
      - .offset:         0
        .size:           1
        .value_kind:     by_value
      - .offset:         4
        .size:           4
        .value_kind:     by_value
      - .address_space:  global
        .offset:         8
        .size:           8
        .value_kind:     global_buffer
      - .address_space:  global
        .offset:         16
        .size:           8
        .value_kind:     global_buffer
      - .offset:         24
        .size:           8
        .value_kind:     by_value
      - .offset:         32
        .size:           8
        .value_kind:     by_value
      - .offset:         40
        .size:           8
        .value_kind:     by_value
      - .address_space:  global
        .offset:         48
        .size:           8
        .value_kind:     global_buffer
      - .offset:         56
        .size:           8
        .value_kind:     by_value
      - .offset:         64
        .size:           8
        .value_kind:     by_value
      - .offset:         72
        .size:           8
        .value_kind:     by_value
      - .offset:         80
        .size:           4
        .value_kind:     by_value
    .group_segment_fixed_size: 0
    .kernarg_segment_align: 8
    .kernarg_segment_size: 84
    .language:       OpenCL C
    .language_version:
      - 2
      - 0
    .max_flat_workgroup_size: 1024
    .name:           _ZL18rocblas_her_kernelILi1024EPKdPKPK19rocblas_complex_numIdEPKPS3_EvbiT0_T1_lllT2_llli
    .private_segment_fixed_size: 0
    .sgpr_count:     42
    .sgpr_spill_count: 0
    .symbol:         _ZL18rocblas_her_kernelILi1024EPKdPKPK19rocblas_complex_numIdEPKPS3_EvbiT0_T1_lllT2_llli.kd
    .uniform_work_group_size: 1
    .uses_dynamic_stack: false
    .vgpr_count:     35
    .vgpr_spill_count: 0
    .wavefront_size: 32
    .workgroup_processor_mode: 1
  - .args:
      - .offset:         0
        .size:           1
        .value_kind:     by_value
      - .offset:         4
        .size:           4
        .value_kind:     by_value
      - .offset:         8
        .size:           8
        .value_kind:     by_value
      - .address_space:  global
        .offset:         16
        .size:           8
        .value_kind:     global_buffer
      - .offset:         24
        .size:           8
        .value_kind:     by_value
      - .offset:         32
        .size:           8
        .value_kind:     by_value
      - .offset:         40
        .size:           8
        .value_kind:     by_value
      - .address_space:  global
        .offset:         48
        .size:           8
        .value_kind:     global_buffer
      - .offset:         56
        .size:           8
        .value_kind:     by_value
      - .offset:         64
        .size:           8
        .value_kind:     by_value
      - .offset:         72
        .size:           8
        .value_kind:     by_value
      - .offset:         80
        .size:           4
        .value_kind:     by_value
    .group_segment_fixed_size: 0
    .kernarg_segment_align: 8
    .kernarg_segment_size: 84
    .language:       OpenCL C
    .language_version:
      - 2
      - 0
    .max_flat_workgroup_size: 1024
    .name:           _ZL18rocblas_her_kernelILi1024EdPKPK19rocblas_complex_numIdEPKPS1_EvbiT0_T1_lllT2_llli
    .private_segment_fixed_size: 0
    .sgpr_count:     44
    .sgpr_spill_count: 0
    .symbol:         _ZL18rocblas_her_kernelILi1024EdPKPK19rocblas_complex_numIdEPKPS1_EvbiT0_T1_lllT2_llli.kd
    .uniform_work_group_size: 1
    .uses_dynamic_stack: false
    .vgpr_count:     35
    .vgpr_spill_count: 0
    .wavefront_size: 32
    .workgroup_processor_mode: 1
amdhsa.target:   amdgcn-amd-amdhsa--gfx1201
amdhsa.version:
  - 1
  - 2
...

	.end_amdgpu_metadata
